;; amdgpu-corpus repo=ROCm/rocFFT kind=compiled arch=gfx906 opt=O3
	.text
	.amdgcn_target "amdgcn-amd-amdhsa--gfx906"
	.amdhsa_code_object_version 6
	.protected	fft_rtc_back_len1764_factors_2_2_3_3_7_7_wgs_126_tpt_126_halfLds_dp_op_CI_CI_sbrr_dirReg ; -- Begin function fft_rtc_back_len1764_factors_2_2_3_3_7_7_wgs_126_tpt_126_halfLds_dp_op_CI_CI_sbrr_dirReg
	.globl	fft_rtc_back_len1764_factors_2_2_3_3_7_7_wgs_126_tpt_126_halfLds_dp_op_CI_CI_sbrr_dirReg
	.p2align	8
	.type	fft_rtc_back_len1764_factors_2_2_3_3_7_7_wgs_126_tpt_126_halfLds_dp_op_CI_CI_sbrr_dirReg,@function
fft_rtc_back_len1764_factors_2_2_3_3_7_7_wgs_126_tpt_126_halfLds_dp_op_CI_CI_sbrr_dirReg: ; @fft_rtc_back_len1764_factors_2_2_3_3_7_7_wgs_126_tpt_126_halfLds_dp_op_CI_CI_sbrr_dirReg
; %bb.0:
	s_load_dwordx4 s[16:19], s[4:5], 0x18
	s_load_dwordx4 s[12:15], s[4:5], 0x0
	;; [unrolled: 1-line block ×3, first 2 shown]
	v_mul_u32_u24_e32 v1, 0x209, v0
	v_add_u32_sdwa v6, s6, v1 dst_sel:DWORD dst_unused:UNUSED_PAD src0_sel:DWORD src1_sel:WORD_1
	s_waitcnt lgkmcnt(0)
	s_load_dwordx2 s[20:21], s[16:17], 0x0
	s_load_dwordx2 s[2:3], s[18:19], 0x0
	v_cmp_lt_u64_e64 s[0:1], s[14:15], 2
	v_mov_b32_e32 v1, 0
	v_mov_b32_e32 v4, 0
	;; [unrolled: 1-line block ×3, first 2 shown]
	s_and_b64 vcc, exec, s[0:1]
	v_mov_b32_e32 v5, 0
	s_cbranch_vccnz .LBB0_8
; %bb.1:
	s_load_dwordx2 s[0:1], s[4:5], 0x10
	s_add_u32 s6, s18, 8
	s_addc_u32 s7, s19, 0
	s_add_u32 s22, s16, 8
	v_mov_b32_e32 v4, 0
	s_addc_u32 s23, s17, 0
	v_mov_b32_e32 v5, 0
	s_waitcnt lgkmcnt(0)
	s_add_u32 s24, s0, 8
	v_mov_b32_e32 v61, v5
	s_addc_u32 s25, s1, 0
	s_mov_b64 s[26:27], 1
	v_mov_b32_e32 v60, v4
.LBB0_2:                                ; =>This Inner Loop Header: Depth=1
	s_load_dwordx2 s[28:29], s[24:25], 0x0
                                        ; implicit-def: $vgpr62_vgpr63
	s_waitcnt lgkmcnt(0)
	v_or_b32_e32 v2, s29, v7
	v_cmp_ne_u64_e32 vcc, 0, v[1:2]
	s_and_saveexec_b64 s[0:1], vcc
	s_xor_b64 s[30:31], exec, s[0:1]
	s_cbranch_execz .LBB0_4
; %bb.3:                                ;   in Loop: Header=BB0_2 Depth=1
	v_cvt_f32_u32_e32 v2, s28
	v_cvt_f32_u32_e32 v3, s29
	s_sub_u32 s0, 0, s28
	s_subb_u32 s1, 0, s29
	v_mac_f32_e32 v2, 0x4f800000, v3
	v_rcp_f32_e32 v2, v2
	v_mul_f32_e32 v2, 0x5f7ffffc, v2
	v_mul_f32_e32 v3, 0x2f800000, v2
	v_trunc_f32_e32 v3, v3
	v_mac_f32_e32 v2, 0xcf800000, v3
	v_cvt_u32_f32_e32 v3, v3
	v_cvt_u32_f32_e32 v2, v2
	v_mul_lo_u32 v8, s0, v3
	v_mul_hi_u32 v9, s0, v2
	v_mul_lo_u32 v11, s1, v2
	v_mul_lo_u32 v10, s0, v2
	v_add_u32_e32 v8, v9, v8
	v_add_u32_e32 v8, v8, v11
	v_mul_hi_u32 v9, v2, v10
	v_mul_lo_u32 v11, v2, v8
	v_mul_hi_u32 v13, v2, v8
	v_mul_hi_u32 v12, v3, v10
	v_mul_lo_u32 v10, v3, v10
	v_mul_hi_u32 v14, v3, v8
	v_add_co_u32_e32 v9, vcc, v9, v11
	v_addc_co_u32_e32 v11, vcc, 0, v13, vcc
	v_mul_lo_u32 v8, v3, v8
	v_add_co_u32_e32 v9, vcc, v9, v10
	v_addc_co_u32_e32 v9, vcc, v11, v12, vcc
	v_addc_co_u32_e32 v10, vcc, 0, v14, vcc
	v_add_co_u32_e32 v8, vcc, v9, v8
	v_addc_co_u32_e32 v9, vcc, 0, v10, vcc
	v_add_co_u32_e32 v2, vcc, v2, v8
	v_addc_co_u32_e32 v3, vcc, v3, v9, vcc
	v_mul_lo_u32 v8, s0, v3
	v_mul_hi_u32 v9, s0, v2
	v_mul_lo_u32 v10, s1, v2
	v_mul_lo_u32 v11, s0, v2
	v_add_u32_e32 v8, v9, v8
	v_add_u32_e32 v8, v8, v10
	v_mul_lo_u32 v12, v2, v8
	v_mul_hi_u32 v13, v2, v11
	v_mul_hi_u32 v14, v2, v8
	;; [unrolled: 1-line block ×3, first 2 shown]
	v_mul_lo_u32 v11, v3, v11
	v_mul_hi_u32 v9, v3, v8
	v_add_co_u32_e32 v12, vcc, v13, v12
	v_addc_co_u32_e32 v13, vcc, 0, v14, vcc
	v_mul_lo_u32 v8, v3, v8
	v_add_co_u32_e32 v11, vcc, v12, v11
	v_addc_co_u32_e32 v10, vcc, v13, v10, vcc
	v_addc_co_u32_e32 v9, vcc, 0, v9, vcc
	v_add_co_u32_e32 v8, vcc, v10, v8
	v_addc_co_u32_e32 v9, vcc, 0, v9, vcc
	v_add_co_u32_e32 v8, vcc, v2, v8
	v_addc_co_u32_e32 v9, vcc, v3, v9, vcc
	v_mad_u64_u32 v[2:3], s[0:1], v6, v9, 0
	v_mul_hi_u32 v10, v6, v8
	v_add_co_u32_e32 v10, vcc, v10, v2
	v_addc_co_u32_e32 v11, vcc, 0, v3, vcc
	v_mad_u64_u32 v[2:3], s[0:1], v7, v8, 0
	v_mad_u64_u32 v[8:9], s[0:1], v7, v9, 0
	v_add_co_u32_e32 v2, vcc, v10, v2
	v_addc_co_u32_e32 v2, vcc, v11, v3, vcc
	v_addc_co_u32_e32 v3, vcc, 0, v9, vcc
	v_add_co_u32_e32 v8, vcc, v2, v8
	v_addc_co_u32_e32 v9, vcc, 0, v3, vcc
	v_mul_lo_u32 v10, s29, v8
	v_mul_lo_u32 v11, s28, v9
	v_mad_u64_u32 v[2:3], s[0:1], s28, v8, 0
	v_add3_u32 v3, v3, v11, v10
	v_sub_u32_e32 v10, v7, v3
	v_mov_b32_e32 v11, s29
	v_sub_co_u32_e32 v2, vcc, v6, v2
	v_subb_co_u32_e64 v10, s[0:1], v10, v11, vcc
	v_subrev_co_u32_e64 v11, s[0:1], s28, v2
	v_subbrev_co_u32_e64 v10, s[0:1], 0, v10, s[0:1]
	v_cmp_le_u32_e64 s[0:1], s29, v10
	v_cndmask_b32_e64 v12, 0, -1, s[0:1]
	v_cmp_le_u32_e64 s[0:1], s28, v11
	v_cndmask_b32_e64 v11, 0, -1, s[0:1]
	v_cmp_eq_u32_e64 s[0:1], s29, v10
	v_cndmask_b32_e64 v10, v12, v11, s[0:1]
	v_add_co_u32_e64 v11, s[0:1], 2, v8
	v_addc_co_u32_e64 v12, s[0:1], 0, v9, s[0:1]
	v_add_co_u32_e64 v13, s[0:1], 1, v8
	v_addc_co_u32_e64 v14, s[0:1], 0, v9, s[0:1]
	v_subb_co_u32_e32 v3, vcc, v7, v3, vcc
	v_cmp_ne_u32_e64 s[0:1], 0, v10
	v_cmp_le_u32_e32 vcc, s29, v3
	v_cndmask_b32_e64 v10, v14, v12, s[0:1]
	v_cndmask_b32_e64 v12, 0, -1, vcc
	v_cmp_le_u32_e32 vcc, s28, v2
	v_cndmask_b32_e64 v2, 0, -1, vcc
	v_cmp_eq_u32_e32 vcc, s29, v3
	v_cndmask_b32_e32 v2, v12, v2, vcc
	v_cmp_ne_u32_e32 vcc, 0, v2
	v_cndmask_b32_e64 v2, v13, v11, s[0:1]
	v_cndmask_b32_e32 v63, v9, v10, vcc
	v_cndmask_b32_e32 v62, v8, v2, vcc
.LBB0_4:                                ;   in Loop: Header=BB0_2 Depth=1
	s_andn2_saveexec_b64 s[0:1], s[30:31]
	s_cbranch_execz .LBB0_6
; %bb.5:                                ;   in Loop: Header=BB0_2 Depth=1
	v_cvt_f32_u32_e32 v2, s28
	s_sub_i32 s30, 0, s28
	v_mov_b32_e32 v63, v1
	v_rcp_iflag_f32_e32 v2, v2
	v_mul_f32_e32 v2, 0x4f7ffffe, v2
	v_cvt_u32_f32_e32 v2, v2
	v_mul_lo_u32 v3, s30, v2
	v_mul_hi_u32 v3, v2, v3
	v_add_u32_e32 v2, v2, v3
	v_mul_hi_u32 v2, v6, v2
	v_mul_lo_u32 v3, v2, s28
	v_add_u32_e32 v8, 1, v2
	v_sub_u32_e32 v3, v6, v3
	v_subrev_u32_e32 v9, s28, v3
	v_cmp_le_u32_e32 vcc, s28, v3
	v_cndmask_b32_e32 v3, v3, v9, vcc
	v_cndmask_b32_e32 v2, v2, v8, vcc
	v_add_u32_e32 v8, 1, v2
	v_cmp_le_u32_e32 vcc, s28, v3
	v_cndmask_b32_e32 v62, v2, v8, vcc
.LBB0_6:                                ;   in Loop: Header=BB0_2 Depth=1
	s_or_b64 exec, exec, s[0:1]
	v_mul_lo_u32 v8, v63, s28
	v_mul_lo_u32 v9, v62, s29
	v_mad_u64_u32 v[2:3], s[0:1], v62, s28, 0
	s_load_dwordx2 s[0:1], s[22:23], 0x0
	s_load_dwordx2 s[28:29], s[6:7], 0x0
	v_add3_u32 v3, v3, v9, v8
	v_sub_co_u32_e32 v2, vcc, v6, v2
	v_subb_co_u32_e32 v3, vcc, v7, v3, vcc
	s_waitcnt lgkmcnt(0)
	v_mul_lo_u32 v6, s0, v3
	v_mul_lo_u32 v7, s1, v2
	v_mad_u64_u32 v[4:5], s[0:1], s0, v2, v[4:5]
	v_mul_lo_u32 v3, s28, v3
	v_mul_lo_u32 v8, s29, v2
	v_mad_u64_u32 v[60:61], s[0:1], s28, v2, v[60:61]
	s_add_u32 s26, s26, 1
	s_addc_u32 s27, s27, 0
	s_add_u32 s6, s6, 8
	v_add3_u32 v61, v8, v61, v3
	s_addc_u32 s7, s7, 0
	v_mov_b32_e32 v2, s14
	s_add_u32 s22, s22, 8
	v_mov_b32_e32 v3, s15
	s_addc_u32 s23, s23, 0
	v_cmp_ge_u64_e32 vcc, s[26:27], v[2:3]
	s_add_u32 s24, s24, 8
	v_add3_u32 v5, v7, v5, v6
	s_addc_u32 s25, s25, 0
	s_cbranch_vccnz .LBB0_9
; %bb.7:                                ;   in Loop: Header=BB0_2 Depth=1
	v_mov_b32_e32 v6, v62
	v_mov_b32_e32 v7, v63
	s_branch .LBB0_2
.LBB0_8:
	v_mov_b32_e32 v61, v5
	v_mov_b32_e32 v63, v7
	;; [unrolled: 1-line block ×4, first 2 shown]
.LBB0_9:
	s_load_dwordx2 s[0:1], s[4:5], 0x28
	s_lshl_b64 s[14:15], s[14:15], 3
	s_add_u32 s4, s18, s14
	s_addc_u32 s5, s19, s15
                                        ; implicit-def: $vgpr90
                                        ; implicit-def: $vgpr91
                                        ; implicit-def: $vgpr96
                                        ; implicit-def: $vgpr97
                                        ; implicit-def: $vgpr98
                                        ; implicit-def: $vgpr66
                                        ; implicit-def: $vgpr67
	s_waitcnt lgkmcnt(0)
	v_cmp_gt_u64_e32 vcc, s[0:1], v[62:63]
	v_cmp_le_u64_e64 s[0:1], s[0:1], v[62:63]
	s_and_saveexec_b64 s[6:7], s[0:1]
	s_xor_b64 s[0:1], exec, s[6:7]
; %bb.10:
	s_mov_b32 s6, 0x2082083
	v_mul_hi_u32 v1, v0, s6
                                        ; implicit-def: $vgpr4_vgpr5
	v_mul_u32_u24_e32 v1, 0x7e, v1
	v_sub_u32_e32 v90, v0, v1
	v_add_u32_e32 v91, 0x7e, v90
	v_add_u32_e32 v96, 0xfc, v90
	;; [unrolled: 1-line block ×6, first 2 shown]
                                        ; implicit-def: $vgpr0
; %bb.11:
	s_or_saveexec_b64 s[6:7], s[0:1]
                                        ; implicit-def: $vgpr30_vgpr31
                                        ; implicit-def: $vgpr2_vgpr3
                                        ; implicit-def: $vgpr26_vgpr27
                                        ; implicit-def: $vgpr6_vgpr7
                                        ; implicit-def: $vgpr34_vgpr35
                                        ; implicit-def: $vgpr10_vgpr11
                                        ; implicit-def: $vgpr38_vgpr39
                                        ; implicit-def: $vgpr14_vgpr15
                                        ; implicit-def: $vgpr42_vgpr43
                                        ; implicit-def: $vgpr18_vgpr19
                                        ; implicit-def: $vgpr46_vgpr47
                                        ; implicit-def: $vgpr22_vgpr23
                                        ; implicit-def: $vgpr54_vgpr55
                                        ; implicit-def: $vgpr50_vgpr51
	s_xor_b64 exec, exec, s[6:7]
	s_cbranch_execz .LBB0_13
; %bb.12:
	s_add_u32 s0, s16, s14
	s_mov_b32 s14, 0x2082083
	s_addc_u32 s1, s17, s15
	v_mul_hi_u32 v1, v0, s14
	s_load_dwordx2 s[0:1], s[0:1], 0x0
	v_mul_u32_u24_e32 v1, 0x7e, v1
	v_sub_u32_e32 v90, v0, v1
	s_waitcnt lgkmcnt(0)
	v_mul_lo_u32 v8, s1, v62
	v_mad_u64_u32 v[0:1], s[14:15], s20, v90, 0
	v_mul_lo_u32 v9, s0, v63
	v_mad_u64_u32 v[2:3], s[0:1], s0, v62, 0
	v_add_u32_e32 v91, 0x7e, v90
	v_add_u32_e32 v10, 0x3f0, v90
	v_mad_u64_u32 v[6:7], s[0:1], s21, v90, v[1:2]
	v_add3_u32 v3, v3, v9, v8
	v_lshlrev_b64 v[2:3], 4, v[2:3]
	v_mov_b32_e32 v1, v6
	v_mov_b32_e32 v6, s9
	v_add_co_u32_e64 v7, s[0:1], s8, v2
	v_add_u32_e32 v8, 0x372, v90
	v_addc_co_u32_e64 v6, s[0:1], v6, v3, s[0:1]
	v_lshlrev_b64 v[2:3], 4, v[4:5]
	v_mad_u64_u32 v[4:5], s[0:1], s20, v8, 0
	v_add_co_u32_e64 v12, s[0:1], v7, v2
	v_mov_b32_e32 v2, v5
	v_addc_co_u32_e64 v13, s[0:1], v6, v3, s[0:1]
	v_mad_u64_u32 v[2:3], s[0:1], s21, v8, v[2:3]
	v_mad_u64_u32 v[6:7], s[0:1], s20, v91, 0
	v_lshlrev_b64 v[0:1], 4, v[0:1]
	v_mov_b32_e32 v5, v2
	v_add_co_u32_e64 v0, s[0:1], v12, v0
	v_lshlrev_b64 v[2:3], 4, v[4:5]
	v_mov_b32_e32 v4, v7
	v_addc_co_u32_e64 v1, s[0:1], v13, v1, s[0:1]
	v_mad_u64_u32 v[4:5], s[0:1], s21, v91, v[4:5]
	v_mad_u64_u32 v[8:9], s[0:1], s20, v10, 0
	v_mov_b32_e32 v7, v4
	v_add_co_u32_e64 v2, s[0:1], v12, v2
	v_lshlrev_b64 v[4:5], 4, v[6:7]
	v_mov_b32_e32 v6, v9
	v_add_u32_e32 v96, 0xfc, v90
	v_addc_co_u32_e64 v3, s[0:1], v13, v3, s[0:1]
	v_mad_u64_u32 v[6:7], s[0:1], s21, v10, v[6:7]
	v_mad_u64_u32 v[10:11], s[0:1], s20, v96, 0
	v_add_co_u32_e64 v56, s[0:1], v12, v4
	v_mov_b32_e32 v9, v6
	v_mov_b32_e32 v6, v11
	v_addc_co_u32_e64 v57, s[0:1], v13, v5, s[0:1]
	v_lshlrev_b64 v[4:5], 4, v[8:9]
	v_mad_u64_u32 v[6:7], s[0:1], s21, v96, v[6:7]
	v_add_u32_e32 v9, 0x46e, v90
	v_mad_u64_u32 v[7:8], s[0:1], s20, v9, 0
	v_add_co_u32_e64 v58, s[0:1], v12, v4
	v_mov_b32_e32 v11, v6
	v_mov_b32_e32 v6, v8
	v_addc_co_u32_e64 v59, s[0:1], v13, v5, s[0:1]
	v_mad_u64_u32 v[8:9], s[0:1], s21, v9, v[6:7]
	v_add_u32_e32 v97, 0x17a, v90
	v_lshlrev_b64 v[4:5], 4, v[10:11]
	v_mad_u64_u32 v[9:10], s[0:1], s20, v97, 0
	v_add_co_u32_e64 v64, s[0:1], v12, v4
	v_mov_b32_e32 v6, v10
	v_addc_co_u32_e64 v65, s[0:1], v13, v5, s[0:1]
	v_lshlrev_b64 v[4:5], 4, v[7:8]
	v_mad_u64_u32 v[6:7], s[0:1], s21, v97, v[6:7]
	v_add_u32_e32 v11, 0x4ec, v90
	v_mad_u64_u32 v[7:8], s[0:1], s20, v11, 0
	v_add_co_u32_e64 v68, s[0:1], v12, v4
	v_mov_b32_e32 v10, v6
	v_mov_b32_e32 v6, v8
	v_addc_co_u32_e64 v69, s[0:1], v13, v5, s[0:1]
	v_lshlrev_b64 v[4:5], 4, v[9:10]
	v_mad_u64_u32 v[8:9], s[0:1], s21, v11, v[6:7]
	v_add_u32_e32 v98, 0x1f8, v90
	v_mad_u64_u32 v[9:10], s[0:1], s20, v98, 0
	v_add_co_u32_e64 v70, s[0:1], v12, v4
	v_mov_b32_e32 v6, v10
	v_addc_co_u32_e64 v71, s[0:1], v13, v5, s[0:1]
	v_lshlrev_b64 v[4:5], 4, v[7:8]
	v_mad_u64_u32 v[6:7], s[0:1], s21, v98, v[6:7]
	v_add_u32_e32 v11, 0x56a, v90
	v_mad_u64_u32 v[7:8], s[0:1], s20, v11, 0
	v_add_co_u32_e64 v72, s[0:1], v12, v4
	v_mov_b32_e32 v10, v6
	v_mov_b32_e32 v6, v8
	v_addc_co_u32_e64 v73, s[0:1], v13, v5, s[0:1]
	v_lshlrev_b64 v[4:5], 4, v[9:10]
	v_mad_u64_u32 v[8:9], s[0:1], s21, v11, v[6:7]
	v_add_u32_e32 v66, 0x276, v90
	;; [unrolled: 15-line block ×3, first 2 shown]
	v_mad_u64_u32 v[9:10], s[0:1], s20, v67, 0
	v_add_co_u32_e64 v78, s[0:1], v12, v4
	v_mov_b32_e32 v6, v10
	v_addc_co_u32_e64 v79, s[0:1], v13, v5, s[0:1]
	v_lshlrev_b64 v[4:5], 4, v[7:8]
	v_mad_u64_u32 v[6:7], s[0:1], s21, v67, v[6:7]
	v_add_u32_e32 v11, 0x666, v90
	v_mad_u64_u32 v[7:8], s[0:1], s20, v11, 0
	v_add_co_u32_e64 v80, s[0:1], v12, v4
	v_mov_b32_e32 v10, v6
	v_mov_b32_e32 v6, v8
	v_addc_co_u32_e64 v81, s[0:1], v13, v5, s[0:1]
	v_lshlrev_b64 v[4:5], 4, v[9:10]
	v_mad_u64_u32 v[8:9], s[0:1], s21, v11, v[6:7]
	v_add_co_u32_e64 v82, s[0:1], v12, v4
	global_load_dwordx4 v[48:51], v[0:1], off
	global_load_dwordx4 v[52:55], v[2:3], off
	v_lshlrev_b64 v[0:1], 4, v[7:8]
	v_addc_co_u32_e64 v83, s[0:1], v13, v5, s[0:1]
	v_add_co_u32_e64 v84, s[0:1], v12, v0
	v_addc_co_u32_e64 v85, s[0:1], v13, v1, s[0:1]
	global_load_dwordx4 v[20:23], v[56:57], off
	global_load_dwordx4 v[44:47], v[58:59], off
	;; [unrolled: 1-line block ×12, first 2 shown]
.LBB0_13:
	s_or_b64 exec, exec, s[6:7]
	s_waitcnt vmcnt(12)
	v_add_f64 v[56:57], v[48:49], -v[52:53]
	s_waitcnt vmcnt(10)
	v_add_f64 v[70:71], v[20:21], -v[44:45]
	;; [unrolled: 2-line block ×3, first 2 shown]
	v_add_f64 v[78:79], v[50:51], -v[54:55]
	s_waitcnt vmcnt(6)
	v_add_f64 v[52:53], v[12:13], -v[36:37]
	s_waitcnt vmcnt(4)
	;; [unrolled: 2-line block ×4, first 2 shown]
	v_add_f64 v[88:89], v[0:1], -v[28:29]
	v_fma_f64 v[54:55], v[48:49], 2.0, -v[56:57]
	v_fma_f64 v[68:69], v[20:21], 2.0, -v[70:71]
	;; [unrolled: 1-line block ×3, first 2 shown]
	v_add_f64 v[24:25], v[22:23], -v[46:47]
	v_add_f64 v[20:21], v[18:19], -v[42:43]
	v_add_f64 v[16:17], v[14:15], -v[38:39]
	v_lshl_add_u32 v40, v90, 4, 0
	v_fma_f64 v[76:77], v[50:51], 2.0, -v[78:79]
	v_fma_f64 v[50:51], v[12:13], 2.0, -v[52:53]
	v_add_f64 v[12:13], v[10:11], -v[34:35]
	v_lshl_add_u32 v72, v91, 4, 0
	ds_write_b128 v40, v[54:57]
	ds_write_b128 v72, v[68:71]
	v_fma_f64 v[56:57], v[8:9], 2.0, -v[58:59]
	v_lshl_add_u32 v74, v96, 4, 0
	v_add_f64 v[8:9], v[6:7], -v[26:27]
	ds_write_b128 v74, v[80:83]
	v_fma_f64 v[82:83], v[4:5], 2.0, -v[84:85]
	v_add_f64 v[4:5], v[2:3], -v[30:31]
	v_fma_f64 v[86:87], v[0:1], 2.0, -v[88:89]
	v_fma_f64 v[22:23], v[22:23], 2.0, -v[24:25]
	;; [unrolled: 1-line block ×6, first 2 shown]
	v_lshl_add_u32 v73, v97, 4, 0
	v_lshl_add_u32 v95, v98, 4, 0
	;; [unrolled: 1-line block ×4, first 2 shown]
	v_lshlrev_b32_e32 v1, 3, v90
	v_fma_f64 v[2:3], v[2:3], 2.0, -v[4:5]
	ds_write_b128 v73, v[50:53]
	ds_write_b128 v95, v[56:59]
	;; [unrolled: 1-line block ×4, first 2 shown]
	v_sub_u32_e32 v92, v40, v1
	v_lshlrev_b32_e32 v89, 3, v91
	v_lshlrev_b32_e32 v105, 3, v96
	;; [unrolled: 1-line block ×6, first 2 shown]
	v_and_b32_e32 v46, 1, v90
	s_load_dwordx2 s[4:5], s[4:5], 0x0
	s_waitcnt lgkmcnt(0)
	s_barrier
	v_add_u32_e32 v75, 0x1800, v92
	v_sub_u32_e32 v104, v72, v89
	v_sub_u32_e32 v106, v74, v105
	;; [unrolled: 1-line block ×3, first 2 shown]
	v_add_u32_e32 v29, 0x2000, v92
	v_sub_u32_e32 v108, v73, v107
	v_sub_u32_e32 v41, v95, v103
	v_add_u32_e32 v80, 0x2800, v92
	v_sub_u32_e32 v64, v99, v100
	ds_read_b64 v[44:45], v92
	ds_read_b64 v[81:82], v108
	;; [unrolled: 1-line block ×7, first 2 shown]
	ds_read_b64 v[32:33], v92 offset:13104
	ds_read2_b64 v[56:59], v75 offset0:114 offset1:240
	ds_read2_b64 v[52:55], v29 offset0:110 offset1:236
	;; [unrolled: 1-line block ×3, first 2 shown]
	s_waitcnt lgkmcnt(0)
	s_barrier
	ds_write_b128 v40, v[76:79]
	ds_write_b128 v72, v[22:25]
	ds_write_b128 v74, v[18:21]
	ds_write_b128 v73, v[14:17]
	ds_write_b128 v95, v[10:13]
	ds_write_b128 v0, v[6:9]
	ds_write_b128 v99, v[2:5]
	v_lshlrev_b32_e32 v0, 4, v46
	s_waitcnt lgkmcnt(0)
	s_barrier
	global_load_dwordx4 v[0:3], v0, s[12:13]
	ds_read2_b64 v[4:7], v75 offset0:114 offset1:240
	ds_read2_b64 v[16:19], v29 offset0:110 offset1:236
	v_lshlrev_b32_e32 v12, 1, v90
	s_movk_i32 s0, 0xfc
	s_movk_i32 s1, 0x1fc
	v_lshlrev_b32_e32 v13, 1, v91
	v_and_or_b32 v12, v12, s0, v46
	v_and_or_b32 v13, v13, s1, v46
	v_lshl_add_u32 v78, v12, 3, 0
	v_lshl_add_u32 v79, v13, 3, 0
	ds_read_b64 v[34:35], v92
	ds_read_b64 v[36:37], v28
	;; [unrolled: 1-line block ×7, first 2 shown]
	ds_read_b64 v[70:71], v92 offset:13104
	ds_read2_b64 v[28:31], v80 offset0:106 offset1:232
	s_waitcnt vmcnt(0) lgkmcnt(0)
	s_barrier
	s_movk_i32 s0, 0x3fc
	s_movk_i32 s1, 0x5fc
	v_sub_u32_e32 v105, 0, v105
	v_mul_f64 v[8:9], v[4:5], v[2:3]
	v_mul_f64 v[10:11], v[6:7], v[2:3]
	;; [unrolled: 1-line block ×6, first 2 shown]
	v_fma_f64 v[8:9], v[56:57], v[0:1], v[8:9]
	v_fma_f64 v[10:11], v[58:59], v[0:1], v[10:11]
	;; [unrolled: 1-line block ×4, first 2 shown]
	v_add_f64 v[8:9], v[44:45], -v[8:9]
	v_add_f64 v[10:11], v[101:102], -v[10:11]
	;; [unrolled: 1-line block ×4, first 2 shown]
	v_fma_f64 v[20:21], v[44:45], 2.0, -v[8:9]
	v_fma_f64 v[22:23], v[101:102], 2.0, -v[10:11]
	ds_write2_b64 v78, v[20:21], v[8:9] offset1:2
	ds_write2_b64 v79, v[22:23], v[10:11] offset1:2
	v_fma_f64 v[8:9], v[93:94], 2.0, -v[12:13]
	v_lshlrev_b32_e32 v20, 1, v96
	v_fma_f64 v[10:11], v[48:49], v[0:1], v[24:25]
	v_and_or_b32 v24, v20, s0, v46
	v_mul_f64 v[20:21], v[70:71], v[2:3]
	v_fma_f64 v[22:23], v[50:51], v[0:1], v[26:27]
	v_lshl_add_u32 v80, v24, 3, 0
	v_fma_f64 v[24:25], v[81:82], 2.0, -v[14:15]
	ds_write2_b64 v80, v[8:9], v[12:13] offset1:2
	v_lshlrev_b32_e32 v8, 1, v97
	v_and_or_b32 v26, v8, s0, v46
	v_add_f64 v[10:11], v[83:84], -v[10:11]
	v_fma_f64 v[8:9], v[32:33], v[0:1], v[20:21]
	v_add_f64 v[12:13], v[85:86], -v[22:23]
	v_lshl_add_u32 v81, v26, 3, 0
	ds_write2_b64 v81, v[24:25], v[14:15] offset1:2
	s_movk_i32 s0, 0x7fc
	v_lshlrev_b32_e32 v14, 1, v98
	v_and_or_b32 v14, v14, s0, v46
	v_fma_f64 v[20:21], v[83:84], 2.0, -v[10:11]
	v_add_f64 v[76:77], v[87:88], -v[8:9]
	v_fma_f64 v[8:9], v[85:86], 2.0, -v[12:13]
	v_lshl_add_u32 v82, v14, 3, 0
	v_add_u32_e32 v102, 0x1000, v92
	v_add_u32_e32 v101, 0x2c00, v92
	v_sub_u32_e32 v83, 0, v89
	ds_write2_b64 v82, v[20:21], v[10:11] offset1:2
	v_fma_f64 v[44:45], v[87:88], 2.0, -v[76:77]
	v_lshlrev_b32_e32 v10, 1, v66
	v_and_or_b32 v10, v10, s1, v46
	v_lshl_add_u32 v94, v10, 3, 0
	ds_write2_b64 v94, v[8:9], v[12:13] offset1:2
	v_lshlrev_b32_e32 v8, 1, v67
	v_and_or_b32 v8, v8, s0, v46
	v_sub_u32_e32 v9, 0, v103
	v_add_u32_e32 v93, v95, v9
	v_lshl_add_u32 v95, v8, 3, 0
	ds_write2_b64 v95, v[44:45], v[76:77] offset1:2
	s_waitcnt lgkmcnt(0)
	s_barrier
	v_add_u32_e32 v103, 0x2400, v92
	ds_read_b64 v[66:67], v106
	ds_read_b64 v[46:47], v108
	;; [unrolled: 1-line block ×4, first 2 shown]
	ds_read2_b64 v[24:27], v102 offset0:76 offset1:202
	ds_read2_b64 v[20:23], v103 offset0:24 offset1:150
	;; [unrolled: 1-line block ×4, first 2 shown]
	s_movk_i32 s0, 0x54
	v_sub_u32_e32 v104, 0, v107
	v_cmp_gt_u32_e64 s[0:1], s0, v90
                                        ; implicit-def: $vgpr88_vgpr89
	s_and_saveexec_b64 s[6:7], s[0:1]
	s_cbranch_execz .LBB0_15
; %bb.14:
	ds_read_b64 v[76:77], v92 offset:8736
	ds_read_b64 v[44:45], v93
	ds_read_b64 v[88:89], v92 offset:13440
.LBB0_15:
	s_or_b64 exec, exec, s[6:7]
	v_mul_f64 v[56:57], v[56:57], v[2:3]
	v_mul_f64 v[58:59], v[58:59], v[2:3]
	;; [unrolled: 1-line block ×7, first 2 shown]
	s_waitcnt lgkmcnt(0)
	v_fma_f64 v[4:5], v[4:5], v[0:1], -v[56:57]
	v_fma_f64 v[6:7], v[6:7], v[0:1], -v[58:59]
	;; [unrolled: 1-line block ×7, first 2 shown]
	s_barrier
	v_add_f64 v[2:3], v[34:35], -v[4:5]
	v_add_f64 v[4:5], v[68:69], -v[6:7]
	;; [unrolled: 1-line block ×7, first 2 shown]
	v_fma_f64 v[0:1], v[34:35], 2.0, -v[2:3]
	v_fma_f64 v[30:31], v[68:69], 2.0, -v[4:5]
	;; [unrolled: 1-line block ×7, first 2 shown]
                                        ; implicit-def: $vgpr52_vgpr53
	ds_write2_b64 v78, v[0:1], v[2:3] offset1:2
	ds_write2_b64 v79, v[30:31], v[4:5] offset1:2
	;; [unrolled: 1-line block ×7, first 2 shown]
	s_waitcnt lgkmcnt(0)
	s_barrier
	ds_read2_b64 v[28:31], v102 offset0:76 offset1:202
	ds_read2_b64 v[16:19], v103 offset0:24 offset1:150
	v_add_u32_e32 v94, v72, v83
	v_add_u32_e32 v95, v74, v105
	ds_read2_b64 v[4:7], v75 offset0:72 offset1:198
	ds_read2_b64 v[0:3], v101 offset0:20 offset1:146
	v_add_u32_e32 v101, v73, v104
	ds_read_b64 v[42:43], v92
	ds_read_b64 v[40:41], v94
	;; [unrolled: 1-line block ×4, first 2 shown]
	s_and_saveexec_b64 s[6:7], s[0:1]
	s_cbranch_execz .LBB0_17
; %bb.16:
	ds_read_b64 v[32:33], v92 offset:8736
	ds_read_b64 v[34:35], v93
	ds_read_b64 v[52:53], v92 offset:13440
.LBB0_17:
	s_or_b64 exec, exec, s[6:7]
	v_and_b32_e32 v102, 3, v90
	v_lshlrev_b32_e32 v48, 5, v102
	global_load_dwordx4 v[103:106], v48, s[12:13] offset:48
	global_load_dwordx4 v[80:83], v48, s[12:13] offset:32
	v_and_b32_e32 v111, 3, v91
	v_and_b32_e32 v112, 3, v97
	s_mov_b32 s6, 0xe8584caa
	s_mov_b32 s7, 0xbfebb67a
	;; [unrolled: 1-line block ×4, first 2 shown]
	s_waitcnt vmcnt(0) lgkmcnt(7)
	v_mul_f64 v[48:49], v[28:29], v[82:83]
	v_fma_f64 v[48:49], v[24:25], v[80:81], v[48:49]
	v_mul_f64 v[24:25], v[24:25], v[82:83]
	v_fma_f64 v[28:29], v[28:29], v[80:81], -v[24:25]
	s_waitcnt lgkmcnt(6)
	v_mul_f64 v[24:25], v[16:17], v[105:106]
	v_fma_f64 v[24:25], v[20:21], v[103:104], v[24:25]
	v_mul_f64 v[20:21], v[20:21], v[105:106]
	v_fma_f64 v[16:17], v[16:17], v[103:104], -v[20:21]
	v_lshlrev_b32_e32 v20, 5, v111
	global_load_dwordx4 v[68:71], v20, s[12:13] offset:48
	global_load_dwordx4 v[54:57], v20, s[12:13] offset:32
	s_waitcnt vmcnt(0)
	v_mul_f64 v[20:21], v[30:31], v[56:57]
	v_fma_f64 v[50:51], v[26:27], v[54:55], v[20:21]
	v_mul_f64 v[20:21], v[26:27], v[56:57]
	v_fma_f64 v[64:65], v[30:31], v[54:55], -v[20:21]
	v_mul_f64 v[20:21], v[18:19], v[70:71]
	v_fma_f64 v[56:57], v[22:23], v[68:69], v[20:21]
	v_mul_f64 v[20:21], v[22:23], v[70:71]
	v_fma_f64 v[30:31], v[18:19], v[68:69], -v[20:21]
	s_waitcnt lgkmcnt(5)
	v_mul_f64 v[18:19], v[4:5], v[82:83]
	v_fma_f64 v[20:21], v[12:13], v[80:81], v[18:19]
	v_mul_f64 v[12:13], v[12:13], v[82:83]
	v_fma_f64 v[22:23], v[4:5], v[80:81], -v[12:13]
	s_waitcnt lgkmcnt(4)
	v_mul_f64 v[4:5], v[0:1], v[105:106]
	v_fma_f64 v[26:27], v[8:9], v[103:104], v[4:5]
	v_mul_f64 v[4:5], v[8:9], v[105:106]
	v_add_f64 v[8:9], v[50:51], v[56:57]
	v_fma_f64 v[18:19], v[0:1], v[103:104], -v[4:5]
	v_lshlrev_b32_e32 v0, 5, v112
	global_load_dwordx4 v[107:110], v0, s[12:13] offset:48
	global_load_dwordx4 v[72:75], v0, s[12:13] offset:32
	v_fma_f64 v[8:9], v[8:9], -0.5, v[84:85]
	v_add_f64 v[4:5], v[28:29], -v[16:17]
	s_waitcnt vmcnt(0) lgkmcnt(0)
	s_barrier
	v_mul_f64 v[0:1], v[6:7], v[74:75]
	v_fma_f64 v[70:71], v[14:15], v[72:73], v[0:1]
	v_mul_f64 v[0:1], v[14:15], v[74:75]
	v_add_f64 v[14:15], v[20:21], v[26:27]
	v_fma_f64 v[72:73], v[6:7], v[72:73], -v[0:1]
	v_mul_f64 v[0:1], v[2:3], v[109:110]
	v_fma_f64 v[14:15], v[14:15], -0.5, v[66:67]
	v_fma_f64 v[74:75], v[10:11], v[107:108], v[0:1]
	v_mul_f64 v[0:1], v[10:11], v[109:110]
	v_add_f64 v[10:11], v[64:65], -v[30:31]
	v_fma_f64 v[68:69], v[2:3], v[107:108], -v[0:1]
	v_mul_f64 v[0:1], v[32:33], v[82:83]
	v_add_f64 v[2:3], v[48:49], v[24:25]
	v_fma_f64 v[12:13], v[10:11], s[6:7], v[8:9]
	v_fma_f64 v[8:9], v[10:11], s[8:9], v[8:9]
	v_add_f64 v[10:11], v[66:67], v[20:21]
	v_fma_f64 v[78:79], v[76:77], v[80:81], v[0:1]
	v_mul_f64 v[0:1], v[76:77], v[82:83]
	v_fma_f64 v[2:3], v[2:3], -0.5, v[86:87]
	v_add_f64 v[10:11], v[10:11], v[26:27]
	v_fma_f64 v[80:81], v[32:33], v[80:81], -v[0:1]
	v_mul_f64 v[0:1], v[52:53], v[105:106]
	v_add_f64 v[32:33], v[22:23], -v[18:19]
	v_fma_f64 v[6:7], v[4:5], s[6:7], v[2:3]
	v_fma_f64 v[2:3], v[4:5], s[8:9], v[2:3]
	v_add_f64 v[4:5], v[84:85], v[50:51]
	v_fma_f64 v[82:83], v[88:89], v[103:104], v[0:1]
	v_mul_f64 v[0:1], v[88:89], v[105:106]
	v_lshrrev_b32_e32 v88, 2, v98
	v_add_f64 v[4:5], v[4:5], v[56:57]
	v_fma_f64 v[76:77], v[52:53], v[103:104], -v[0:1]
	v_fma_f64 v[52:53], v[32:33], s[6:7], v[14:15]
	v_fma_f64 v[14:15], v[32:33], s[8:9], v[14:15]
	v_add_f64 v[32:33], v[46:47], v[70:71]
	v_add_f64 v[0:1], v[86:87], v[48:49]
	v_add_f64 v[84:85], v[80:81], -v[76:77]
	v_add_f64 v[54:55], v[32:33], v[74:75]
	v_add_f64 v[32:33], v[70:71], v[74:75]
	;; [unrolled: 1-line block ×3, first 2 shown]
	v_fma_f64 v[32:33], v[32:33], -0.5, v[46:47]
	v_add_f64 v[46:47], v[72:73], -v[68:69]
	v_fma_f64 v[58:59], v[46:47], s[6:7], v[32:33]
	v_fma_f64 v[66:67], v[46:47], s[8:9], v[32:33]
	v_add_f64 v[46:47], v[78:79], v[82:83]
	v_add_f64 v[32:33], v[44:45], v[78:79]
	v_fma_f64 v[44:45], v[46:47], -0.5, v[44:45]
	v_add_f64 v[32:33], v[32:33], v[82:83]
	v_fma_f64 v[46:47], v[84:85], s[6:7], v[44:45]
	v_fma_f64 v[44:45], v[84:85], s[8:9], v[44:45]
	v_lshrrev_b32_e32 v84, 2, v90
	v_mul_u32_u24_e32 v84, 12, v84
	v_or_b32_e32 v84, v84, v102
	v_lshl_add_u32 v84, v84, 3, 0
	ds_write2_b64 v84, v[0:1], v[6:7] offset1:4
	ds_write_b64 v84, v[2:3] offset:64
	v_lshrrev_b32_e32 v0, 2, v91
	v_mul_lo_u32 v0, v0, 12
	v_or_b32_e32 v0, v0, v111
	v_lshl_add_u32 v85, v0, 3, 0
	v_lshrrev_b32_e32 v0, 2, v96
	v_mul_lo_u32 v0, v0, 12
	ds_write2_b64 v85, v[4:5], v[12:13] offset1:4
	ds_write_b64 v85, v[8:9] offset:64
	v_or_b32_e32 v0, v0, v102
	v_lshl_add_u32 v86, v0, 3, 0
	v_lshrrev_b32_e32 v0, 2, v97
	v_mul_lo_u32 v0, v0, 12
	ds_write2_b64 v86, v[10:11], v[52:53] offset1:4
	ds_write_b64 v86, v[14:15] offset:64
	v_or_b32_e32 v0, v0, v112
	v_lshl_add_u32 v87, v0, 3, 0
	ds_write2_b64 v87, v[54:55], v[58:59] offset1:4
	ds_write_b64 v87, v[66:67] offset:64
	s_and_saveexec_b64 s[6:7], s[0:1]
	s_cbranch_execz .LBB0_19
; %bb.18:
	v_mul_lo_u32 v0, v88, 12
	v_or_b32_e32 v0, v0, v102
	v_lshl_add_u32 v0, v0, 3, 0
	ds_write2_b64 v0, v[32:33], v[46:47] offset1:4
	ds_write_b64 v0, v[44:45] offset:64
.LBB0_19:
	s_or_b64 exec, exec, s[6:7]
	v_add_u32_e32 v0, 0x1000, v92
	s_waitcnt lgkmcnt(0)
	s_barrier
	ds_read2_b64 v[12:15], v0 offset0:76 offset1:202
	v_add_u32_e32 v0, 0x2400, v92
	ds_read2_b64 v[8:11], v0 offset0:24 offset1:150
	v_add_u32_e32 v0, 0x1800, v92
	;; [unrolled: 2-line block ×3, first 2 shown]
	ds_read2_b64 v[0:3], v0 offset0:20 offset1:146
	ds_read_b64 v[66:67], v92
	ds_read_b64 v[58:59], v94
	;; [unrolled: 1-line block ×4, first 2 shown]
	s_and_saveexec_b64 s[6:7], s[0:1]
	s_cbranch_execz .LBB0_21
; %bb.20:
	ds_read_b64 v[46:47], v92 offset:8736
	ds_read_b64 v[32:33], v93
	ds_read_b64 v[44:45], v92 offset:13440
.LBB0_21:
	s_or_b64 exec, exec, s[6:7]
	v_add_f64 v[103:104], v[28:29], v[16:17]
	v_add_f64 v[105:106], v[64:65], v[30:31]
	;; [unrolled: 1-line block ×3, first 2 shown]
	v_add_f64 v[24:25], v[48:49], -v[24:25]
	v_add_f64 v[48:49], v[40:41], v[64:65]
	v_add_f64 v[50:51], v[50:51], -v[56:57]
	s_mov_b32 s6, 0xe8584caa
	s_mov_b32 s7, 0x3febb67a
	v_fma_f64 v[42:43], v[103:104], -0.5, v[42:43]
	v_fma_f64 v[40:41], v[105:106], -0.5, v[40:41]
	s_mov_b32 s9, 0xbfebb67a
	s_mov_b32 s8, s6
	v_add_f64 v[56:57], v[22:23], v[18:19]
	v_add_f64 v[16:17], v[28:29], v[16:17]
	;; [unrolled: 1-line block ×4, first 2 shown]
	v_fma_f64 v[30:31], v[24:25], s[6:7], v[42:43]
	v_fma_f64 v[24:25], v[24:25], s[8:9], v[42:43]
	v_add_f64 v[42:43], v[72:73], v[68:69]
	v_fma_f64 v[48:49], v[50:51], s[6:7], v[40:41]
	v_fma_f64 v[40:41], v[50:51], s[8:9], v[40:41]
	v_add_f64 v[50:51], v[80:81], v[76:77]
	v_fma_f64 v[38:39], v[56:57], -0.5, v[38:39]
	v_add_f64 v[20:21], v[20:21], -v[26:27]
	v_add_f64 v[26:27], v[36:37], v[72:73]
	v_add_f64 v[56:57], v[34:35], v[80:81]
	v_fma_f64 v[36:37], v[42:43], -0.5, v[36:37]
	v_add_f64 v[42:43], v[70:71], -v[74:75]
	v_add_f64 v[70:71], v[78:79], -v[82:83]
	v_fma_f64 v[64:65], v[50:51], -0.5, v[34:35]
	v_add_f64 v[18:19], v[22:23], v[18:19]
	v_fma_f64 v[22:23], v[20:21], s[6:7], v[38:39]
	v_fma_f64 v[20:21], v[20:21], s[8:9], v[38:39]
	v_add_f64 v[34:35], v[56:57], v[76:77]
	v_add_f64 v[26:27], v[26:27], v[68:69]
	v_fma_f64 v[38:39], v[42:43], s[6:7], v[36:37]
	v_fma_f64 v[36:37], v[42:43], s[8:9], v[36:37]
	;; [unrolled: 1-line block ×4, first 2 shown]
	s_waitcnt lgkmcnt(0)
	s_barrier
	ds_write2_b64 v84, v[16:17], v[30:31] offset1:4
	ds_write_b64 v84, v[24:25] offset:64
	ds_write2_b64 v85, v[28:29], v[48:49] offset1:4
	ds_write_b64 v85, v[40:41] offset:64
	;; [unrolled: 2-line block ×4, first 2 shown]
	s_and_saveexec_b64 s[6:7], s[0:1]
	s_cbranch_execz .LBB0_23
; %bb.22:
	v_mul_lo_u32 v16, v88, 12
	v_or_b32_e32 v16, v16, v102
	v_lshl_add_u32 v16, v16, 3, 0
	ds_write2_b64 v16, v[34:35], v[50:51] offset1:4
	ds_write_b64 v16, v[64:65] offset:64
.LBB0_23:
	s_or_b64 exec, exec, s[6:7]
	v_add_u32_e32 v16, 0x1000, v92
	s_waitcnt lgkmcnt(0)
	s_barrier
	ds_read2_b64 v[28:31], v16 offset0:76 offset1:202
	v_add_u32_e32 v16, 0x2400, v92
	ds_read2_b64 v[24:27], v16 offset0:24 offset1:150
	v_add_u32_e32 v16, 0x1800, v92
	;; [unrolled: 2-line block ×3, first 2 shown]
	ds_read2_b64 v[16:19], v16 offset0:20 offset1:146
	ds_read_b64 v[42:43], v92
	ds_read_b64 v[40:41], v94
	;; [unrolled: 1-line block ×4, first 2 shown]
	s_and_saveexec_b64 s[6:7], s[0:1]
	s_cbranch_execz .LBB0_25
; %bb.24:
	ds_read_b64 v[50:51], v92 offset:8736
	ds_read_b64 v[34:35], v93
	ds_read_b64 v[64:65], v92 offset:13440
.LBB0_25:
	s_or_b64 exec, exec, s[6:7]
	s_movk_i32 s6, 0xab
	v_mul_lo_u16_sdwa v48, v90, s6 dst_sel:DWORD dst_unused:UNUSED_PAD src0_sel:BYTE_0 src1_sel:DWORD
	v_lshrrev_b16_e32 v85, 11, v48
	v_mul_lo_u16_e32 v48, 12, v85
	v_sub_u16_e32 v86, v90, v48
	v_mov_b32_e32 v56, 5
	v_lshlrev_b32_sdwa v48, v56, v86 dst_sel:DWORD dst_unused:UNUSED_PAD src0_sel:DWORD src1_sel:BYTE_0
	global_load_dwordx4 v[69:72], v48, s[12:13] offset:176
	global_load_dwordx4 v[73:76], v48, s[12:13] offset:160
	v_sub_u32_e32 v68, 0, v100
	s_mov_b32 s9, 0x3febb67a
	s_waitcnt vmcnt(0) lgkmcnt(7)
	v_mul_f64 v[48:49], v[28:29], v[75:76]
	v_fma_f64 v[48:49], v[12:13], v[73:74], v[48:49]
	v_mul_f64 v[12:13], v[12:13], v[75:76]
	v_fma_f64 v[12:13], v[28:29], v[73:74], -v[12:13]
	s_waitcnt lgkmcnt(6)
	v_mul_f64 v[28:29], v[24:25], v[71:72]
	v_fma_f64 v[28:29], v[8:9], v[69:70], v[28:29]
	v_mul_f64 v[8:9], v[8:9], v[71:72]
	v_fma_f64 v[8:9], v[24:25], v[69:70], -v[8:9]
	v_mul_lo_u16_sdwa v24, v91, s6 dst_sel:DWORD dst_unused:UNUSED_PAD src0_sel:BYTE_0 src1_sel:DWORD
	v_lshrrev_b16_e32 v87, 11, v24
	v_mul_lo_u16_e32 v24, 12, v87
	v_sub_u16_e32 v88, v91, v24
	v_lshlrev_b32_sdwa v24, v56, v88 dst_sel:DWORD dst_unused:UNUSED_PAD src0_sel:DWORD src1_sel:BYTE_0
	global_load_dwordx4 v[69:72], v24, s[12:13] offset:176
	global_load_dwordx4 v[73:76], v24, s[12:13] offset:160
	s_mov_b32 s6, 0xaaab
	s_waitcnt vmcnt(0)
	v_mul_f64 v[24:25], v[30:31], v[75:76]
	v_fma_f64 v[24:25], v[14:15], v[73:74], v[24:25]
	v_mul_f64 v[14:15], v[14:15], v[75:76]
	v_fma_f64 v[14:15], v[30:31], v[73:74], -v[14:15]
	v_mul_f64 v[30:31], v[26:27], v[71:72]
	v_fma_f64 v[30:31], v[10:11], v[69:70], v[30:31]
	v_mul_f64 v[10:11], v[10:11], v[71:72]
	v_fma_f64 v[10:11], v[26:27], v[69:70], -v[10:11]
	v_mul_u32_u24_sdwa v26, v96, s6 dst_sel:DWORD dst_unused:UNUSED_PAD src0_sel:WORD_0 src1_sel:DWORD
	v_lshrrev_b32_e32 v89, 19, v26
	v_mul_lo_u16_e32 v26, 12, v89
	v_sub_u16_e32 v96, v96, v26
	v_lshlrev_b32_e32 v26, 5, v96
	global_load_dwordx4 v[69:72], v26, s[12:13] offset:176
	global_load_dwordx4 v[73:76], v26, s[12:13] offset:160
	s_waitcnt vmcnt(0) lgkmcnt(5)
	v_mul_f64 v[26:27], v[20:21], v[75:76]
	v_fma_f64 v[26:27], v[4:5], v[73:74], v[26:27]
	v_mul_f64 v[4:5], v[4:5], v[75:76]
	v_fma_f64 v[20:21], v[20:21], v[73:74], -v[4:5]
	s_waitcnt lgkmcnt(4)
	v_mul_f64 v[4:5], v[16:17], v[71:72]
	v_fma_f64 v[4:5], v[0:1], v[69:70], v[4:5]
	v_mul_f64 v[0:1], v[0:1], v[71:72]
	v_fma_f64 v[0:1], v[16:17], v[69:70], -v[0:1]
	v_mul_u32_u24_sdwa v16, v97, s6 dst_sel:DWORD dst_unused:UNUSED_PAD src0_sel:WORD_0 src1_sel:DWORD
	v_lshrrev_b32_e32 v100, 19, v16
	v_mul_lo_u16_e32 v16, 12, v100
	v_sub_u16_e32 v97, v97, v16
	v_lshlrev_b32_e32 v16, 5, v97
	global_load_dwordx4 v[69:72], v16, s[12:13] offset:176
	global_load_dwordx4 v[73:76], v16, s[12:13] offset:160
	s_waitcnt vmcnt(0)
	v_mul_f64 v[16:17], v[22:23], v[75:76]
	v_fma_f64 v[16:17], v[6:7], v[73:74], v[16:17]
	v_mul_f64 v[6:7], v[6:7], v[75:76]
	v_fma_f64 v[56:57], v[22:23], v[73:74], -v[6:7]
	v_mul_f64 v[6:7], v[18:19], v[71:72]
	v_fma_f64 v[6:7], v[2:3], v[69:70], v[6:7]
	v_mul_f64 v[2:3], v[2:3], v[71:72]
	v_fma_f64 v[2:3], v[18:19], v[69:70], -v[2:3]
	v_mul_u32_u24_sdwa v18, v98, s6 dst_sel:DWORD dst_unused:UNUSED_PAD src0_sel:WORD_0 src1_sel:DWORD
	v_lshrrev_b32_e32 v101, 19, v18
	v_mul_lo_u16_e32 v18, 12, v101
	v_sub_u16_e32 v98, v98, v18
	v_lshlrev_b32_e32 v18, 5, v98
	global_load_dwordx4 v[69:72], v18, s[12:13] offset:176
	global_load_dwordx4 v[73:76], v18, s[12:13] offset:160
	s_mov_b32 s6, 0xe8584caa
	s_mov_b32 s7, 0xbfebb67a
	;; [unrolled: 1-line block ×3, first 2 shown]
	s_waitcnt vmcnt(0) lgkmcnt(0)
	s_barrier
	v_mul_f64 v[18:19], v[50:51], v[75:76]
	v_mul_f64 v[22:23], v[46:47], v[75:76]
	v_fma_f64 v[18:19], v[46:47], v[73:74], v[18:19]
	v_fma_f64 v[46:47], v[50:51], v[73:74], -v[22:23]
	v_mul_f64 v[22:23], v[64:65], v[71:72]
	v_fma_f64 v[50:51], v[44:45], v[69:70], v[22:23]
	v_mul_f64 v[22:23], v[44:45], v[71:72]
	v_add_f64 v[44:45], v[66:67], v[48:49]
	v_fma_f64 v[22:23], v[64:65], v[69:70], -v[22:23]
	v_add_f64 v[64:65], v[44:45], v[28:29]
	v_add_f64 v[44:45], v[48:49], v[28:29]
	v_fma_f64 v[44:45], v[44:45], -0.5, v[66:67]
	v_add_f64 v[66:67], v[12:13], -v[8:9]
	v_fma_f64 v[69:70], v[66:67], s[6:7], v[44:45]
	v_fma_f64 v[66:67], v[66:67], s[8:9], v[44:45]
	v_add_f64 v[44:45], v[58:59], v[24:25]
	v_add_f64 v[71:72], v[44:45], v[30:31]
	v_add_f64 v[44:45], v[24:25], v[30:31]
	v_fma_f64 v[44:45], v[44:45], -0.5, v[58:59]
	v_add_f64 v[58:59], v[14:15], -v[10:11]
	v_fma_f64 v[73:74], v[58:59], s[6:7], v[44:45]
	v_fma_f64 v[58:59], v[58:59], s[8:9], v[44:45]
	v_add_f64 v[44:45], v[54:55], v[26:27]
	;; [unrolled: 7-line block ×3, first 2 shown]
	v_lshlrev_b32_e32 v55, 3, v96
	v_add_f64 v[81:82], v[44:45], v[6:7]
	v_add_f64 v[44:45], v[16:17], v[6:7]
	v_fma_f64 v[44:45], v[44:45], -0.5, v[52:53]
	v_add_f64 v[52:53], v[56:57], -v[2:3]
	v_fma_f64 v[83:84], v[52:53], s[6:7], v[44:45]
	v_fma_f64 v[52:53], v[52:53], s[8:9], v[44:45]
	v_mov_b32_e32 v45, 3
	v_mul_u32_u24_e32 v44, 0x120, v85
	v_lshlrev_b32_sdwa v54, v45, v86 dst_sel:DWORD dst_unused:UNUSED_PAD src0_sel:DWORD src1_sel:BYTE_0
	v_add3_u32 v44, 0, v44, v54
	v_mul_u32_u24_e32 v54, 0x120, v87
	v_lshlrev_b32_sdwa v45, v45, v88 dst_sel:DWORD dst_unused:UNUSED_PAD src0_sel:DWORD src1_sel:BYTE_0
	v_add3_u32 v45, 0, v54, v45
	v_mul_u32_u24_e32 v54, 0x120, v89
	ds_write2_b64 v44, v[64:65], v[69:70] offset1:12
	ds_write_b64 v44, v[66:67] offset:192
	ds_write2_b64 v45, v[71:72], v[73:74] offset1:12
	ds_write_b64 v45, v[58:59] offset:192
	v_add3_u32 v54, 0, v54, v55
	v_mul_u32_u24_e32 v55, 0x120, v100
	v_lshlrev_b32_e32 v58, 3, v97
	v_add3_u32 v55, 0, v55, v58
	ds_write2_b64 v54, v[75:76], v[77:78] offset1:12
	ds_write_b64 v54, v[79:80] offset:192
	ds_write2_b64 v55, v[81:82], v[83:84] offset1:12
	ds_write_b64 v55, v[52:53] offset:192
	v_mul_lo_u16_e32 v52, 36, v101
	v_lshlrev_b32_e32 v53, 3, v98
	s_and_saveexec_b64 s[14:15], s[0:1]
	s_cbranch_execz .LBB0_27
; %bb.26:
	v_add_f64 v[58:59], v[18:19], v[50:51]
	v_add_f64 v[64:65], v[46:47], -v[22:23]
	v_add_f64 v[66:67], v[32:33], v[18:19]
	v_fma_f64 v[32:33], v[58:59], -0.5, v[32:33]
	v_add_f64 v[58:59], v[66:67], v[50:51]
	v_fma_f64 v[66:67], v[64:65], s[6:7], v[32:33]
	v_fma_f64 v[32:33], v[64:65], s[8:9], v[32:33]
	v_lshlrev_b32_e32 v64, 3, v52
	v_add3_u32 v64, 0, v53, v64
	ds_write2_b64 v64, v[58:59], v[66:67] offset1:12
	ds_write_b64 v64, v[32:33] offset:192
.LBB0_27:
	s_or_b64 exec, exec, s[14:15]
	v_add_f64 v[32:33], v[12:13], v[8:9]
	v_add_f64 v[12:13], v[42:43], v[12:13]
	v_add_f64 v[28:29], v[48:49], -v[28:29]
	v_add_f64 v[48:49], v[40:41], v[14:15]
	v_add_f64 v[14:15], v[14:15], v[10:11]
	v_add_f64 v[24:25], v[24:25], -v[30:31]
	v_add_f64 v[30:31], v[20:21], v[0:1]
	v_add_f64 v[20:21], v[38:39], v[20:21]
	v_fma_f64 v[32:33], v[32:33], -0.5, v[42:43]
	v_add_f64 v[42:43], v[56:57], v[2:3]
	v_add_f64 v[4:5], v[26:27], -v[4:5]
	v_add_f64 v[26:27], v[36:37], v[56:57]
	v_fma_f64 v[14:15], v[14:15], -0.5, v[40:41]
	v_add_f64 v[40:41], v[12:13], v[8:9]
	v_fma_f64 v[8:9], v[30:31], -0.5, v[38:39]
	v_add_f64 v[6:7], v[16:17], -v[6:7]
	v_fma_f64 v[56:57], v[28:29], s[8:9], v[32:33]
	v_fma_f64 v[12:13], v[42:43], -0.5, v[36:37]
	v_fma_f64 v[58:59], v[28:29], s[6:7], v[32:33]
	v_add_u32_e32 v33, 0x1800, v92
	v_add_u32_e32 v36, 0x2000, v92
	;; [unrolled: 1-line block ×4, first 2 shown]
	v_add_f64 v[42:43], v[48:49], v[10:11]
	v_fma_f64 v[48:49], v[24:25], s[8:9], v[14:15]
	v_fma_f64 v[64:65], v[24:25], s[6:7], v[14:15]
	v_add_f64 v[66:67], v[20:21], v[0:1]
	v_fma_f64 v[69:70], v[4:5], s[8:9], v[8:9]
	v_fma_f64 v[71:72], v[4:5], s[6:7], v[8:9]
	;; [unrolled: 3-line block ×3, first 2 shown]
	s_waitcnt lgkmcnt(0)
	s_barrier
	ds_read_b64 v[24:25], v92
	v_add_u32_e32 v32, v99, v68
	ds_read_b64 v[28:29], v93
	ds_read_b64 v[26:27], v32
	ds_read2_b64 v[0:3], v33 offset0:114 offset1:240
	ds_read2_b64 v[4:7], v36 offset0:110 offset1:236
	;; [unrolled: 1-line block ×4, first 2 shown]
	ds_read_b64 v[30:31], v95
	ds_read_b64 v[16:17], v94
	ds_read_b64 v[20:21], v92 offset:13104
	s_waitcnt lgkmcnt(0)
	s_barrier
	ds_write2_b64 v44, v[40:41], v[56:57] offset1:12
	ds_write_b64 v44, v[58:59] offset:192
	ds_write2_b64 v45, v[42:43], v[48:49] offset1:12
	ds_write_b64 v45, v[64:65] offset:192
	ds_write2_b64 v54, v[66:67], v[69:70] offset1:12
	ds_write_b64 v54, v[71:72] offset:192
	ds_write2_b64 v55, v[73:74], v[75:76] offset1:12
	ds_write_b64 v55, v[77:78] offset:192
	s_and_saveexec_b64 s[6:7], s[0:1]
	s_cbranch_execz .LBB0_29
; %bb.28:
	v_add_f64 v[39:40], v[46:47], v[22:23]
	v_add_f64 v[41:42], v[34:35], v[46:47]
	v_add_f64 v[18:19], v[18:19], -v[50:51]
	s_mov_b32 s1, 0x3febb67a
	s_mov_b32 s0, 0xe8584caa
	v_fma_f64 v[34:35], v[39:40], -0.5, v[34:35]
	v_add_f64 v[22:23], v[41:42], v[22:23]
	v_fma_f64 v[39:40], v[18:19], s[0:1], v[34:35]
	s_mov_b32 s1, 0xbfebb67a
	v_fma_f64 v[18:19], v[18:19], s[0:1], v[34:35]
	v_lshlrev_b32_e32 v34, 3, v52
	v_add3_u32 v34, 0, v53, v34
	ds_write2_b64 v34, v[22:23], v[39:40] offset1:12
	ds_write_b64 v34, v[18:19] offset:192
.LBB0_29:
	s_or_b64 exec, exec, s[6:7]
	v_mov_b32_e32 v18, 57
	v_mul_lo_u16_sdwa v19, v90, v18 dst_sel:DWORD dst_unused:UNUSED_PAD src0_sel:BYTE_0 src1_sel:DWORD
	v_lshrrev_b16_e32 v59, 11, v19
	v_mul_lo_u16_e32 v19, 36, v59
	v_sub_u16_e32 v122, v90, v19
	v_mov_b32_e32 v19, 6
	v_mul_u32_u24_sdwa v22, v122, v19 dst_sel:DWORD dst_unused:UNUSED_PAD src0_sel:BYTE_0 src1_sel:DWORD
	v_lshlrev_b32_e32 v22, 4, v22
	s_waitcnt lgkmcnt(0)
	s_barrier
	global_load_dwordx4 v[39:42], v22, s[12:13] offset:544
	global_load_dwordx4 v[43:46], v22, s[12:13] offset:560
	;; [unrolled: 1-line block ×4, first 2 shown]
	v_mul_lo_u16_sdwa v18, v91, v18 dst_sel:DWORD dst_unused:UNUSED_PAD src0_sel:BYTE_0 src1_sel:DWORD
	global_load_dwordx4 v[55:58], v22, s[12:13] offset:624
	global_load_dwordx4 v[64:67], v22, s[12:13] offset:608
	v_lshrrev_b16_e32 v123, 11, v18
	v_mul_lo_u16_e32 v18, 36, v123
	v_sub_u16_e32 v124, v91, v18
	v_mul_u32_u24_sdwa v18, v124, v19 dst_sel:DWORD dst_unused:UNUSED_PAD src0_sel:BYTE_0 src1_sel:DWORD
	v_lshlrev_b32_e32 v18, 4, v18
	global_load_dwordx4 v[68:71], v18, s[12:13] offset:544
	global_load_dwordx4 v[72:75], v18, s[12:13] offset:560
	;; [unrolled: 1-line block ×6, first 2 shown]
	ds_read_b64 v[18:19], v95
	ds_read_b64 v[22:23], v92
	;; [unrolled: 1-line block ×5, first 2 shown]
	ds_read2_b64 v[100:103], v33 offset0:114 offset1:240
	ds_read2_b64 v[104:107], v36 offset0:110 offset1:236
	;; [unrolled: 1-line block ×4, first 2 shown]
	ds_read_b64 v[120:121], v92 offset:13104
	s_mov_b32 s0, 0x37e14327
	s_mov_b32 s6, 0x36b3c0b5
	;; [unrolled: 1-line block ×20, first 2 shown]
	s_waitcnt vmcnt(0) lgkmcnt(0)
	s_barrier
	v_mul_f64 v[116:117], v[18:19], v[41:42]
	v_mul_f64 v[41:42], v[30:31], v[41:42]
	v_fma_f64 v[30:31], v[30:31], v[39:40], v[116:117]
	v_mul_f64 v[116:117], v[34:35], v[45:46]
	v_fma_f64 v[18:19], v[18:19], v[39:40], -v[41:42]
	v_mul_f64 v[39:40], v[28:29], v[45:46]
	v_mul_f64 v[41:42], v[118:119], v[49:50]
	;; [unrolled: 1-line block ×4, first 2 shown]
	v_fma_f64 v[28:29], v[28:29], v[43:44], v[116:117]
	v_fma_f64 v[34:35], v[34:35], v[43:44], -v[39:40]
	v_mul_f64 v[39:40], v[2:3], v[53:54]
	v_mul_f64 v[43:44], v[106:107], v[66:67]
	;; [unrolled: 1-line block ×3, first 2 shown]
	v_fma_f64 v[26:27], v[26:27], v[47:48], v[41:42]
	v_mul_f64 v[41:42], v[110:111], v[57:58]
	v_fma_f64 v[45:46], v[118:119], v[47:48], -v[45:46]
	v_mul_f64 v[47:48], v[10:11], v[57:58]
	v_mul_f64 v[57:58], v[112:113], v[70:71]
	;; [unrolled: 1-line block ×3, first 2 shown]
	v_fma_f64 v[6:7], v[6:7], v[64:65], v[43:44]
	v_fma_f64 v[43:44], v[106:107], v[64:65], -v[53:54]
	v_mul_f64 v[53:54], v[100:101], v[78:79]
	v_mul_f64 v[64:65], v[0:1], v[78:79]
	v_fma_f64 v[10:11], v[10:11], v[55:56], v[41:42]
	v_fma_f64 v[41:42], v[110:111], v[55:56], -v[47:48]
	v_fma_f64 v[12:13], v[12:13], v[68:69], v[57:58]
	v_fma_f64 v[57:58], v[112:113], v[68:69], -v[66:67]
	v_mul_f64 v[66:67], v[108:109], v[86:87]
	v_fma_f64 v[2:3], v[2:3], v[51:52], v[49:50]
	v_fma_f64 v[39:40], v[102:103], v[51:52], -v[39:40]
	v_mul_f64 v[68:69], v[8:9], v[86:87]
	v_fma_f64 v[0:1], v[0:1], v[76:77], v[53:54]
	v_fma_f64 v[53:54], v[100:101], v[76:77], -v[64:65]
	v_add_f64 v[64:65], v[30:31], v[10:11]
	v_add_f64 v[10:11], v[30:31], -v[10:11]
	v_fma_f64 v[8:9], v[8:9], v[84:85], v[66:67]
	v_add_f64 v[66:67], v[18:19], v[41:42]
	v_add_f64 v[18:19], v[18:19], -v[41:42]
	v_add_f64 v[30:31], v[28:29], v[6:7]
	v_add_f64 v[41:42], v[34:35], v[43:44]
	v_mul_f64 v[49:50], v[114:115], v[74:75]
	v_mul_f64 v[51:52], v[14:15], v[74:75]
	;; [unrolled: 1-line block ×4, first 2 shown]
	v_add_f64 v[6:7], v[28:29], -v[6:7]
	v_add_f64 v[28:29], v[34:35], -v[43:44]
	v_add_f64 v[34:35], v[26:27], v[2:3]
	v_add_f64 v[43:44], v[45:46], v[39:40]
	v_add_f64 v[2:3], v[2:3], -v[26:27]
	v_add_f64 v[26:27], v[39:40], -v[45:46]
	v_add_f64 v[39:40], v[30:31], v[64:65]
	v_add_f64 v[45:46], v[41:42], v[66:67]
	v_fma_f64 v[14:15], v[14:15], v[72:73], v[49:50]
	v_fma_f64 v[51:52], v[114:115], v[72:73], -v[51:52]
	v_fma_f64 v[4:5], v[4:5], v[80:81], v[47:48]
	v_fma_f64 v[47:48], v[104:105], v[80:81], -v[55:56]
	v_fma_f64 v[55:56], v[108:109], v[84:85], -v[68:69]
	v_add_f64 v[68:69], v[30:31], -v[64:65]
	v_add_f64 v[72:73], v[41:42], -v[66:67]
	;; [unrolled: 1-line block ×6, first 2 shown]
	v_add_f64 v[74:75], v[2:3], v[6:7]
	v_add_f64 v[76:77], v[26:27], v[28:29]
	v_add_f64 v[78:79], v[2:3], -v[6:7]
	v_add_f64 v[80:81], v[26:27], -v[28:29]
	;; [unrolled: 1-line block ×4, first 2 shown]
	v_add_f64 v[34:35], v[34:35], v[39:40]
	v_add_f64 v[39:40], v[43:44], v[45:46]
	v_add_f64 v[2:3], v[10:11], -v[2:3]
	v_add_f64 v[26:27], v[18:19], -v[26:27]
	v_add_f64 v[10:11], v[74:75], v[10:11]
	v_add_f64 v[18:19], v[76:77], v[18:19]
	v_mul_f64 v[43:44], v[64:65], s[0:1]
	v_mul_f64 v[45:46], v[66:67], s[0:1]
	;; [unrolled: 1-line block ×4, first 2 shown]
	v_add_f64 v[24:25], v[24:25], v[34:35]
	v_add_f64 v[74:75], v[22:23], v[39:40]
	v_mul_f64 v[22:23], v[78:79], s[20:21]
	v_mul_f64 v[76:77], v[80:81], s[20:21]
	;; [unrolled: 1-line block ×6, first 2 shown]
	v_fma_f64 v[34:35], v[34:35], s[22:23], v[24:25]
	v_fma_f64 v[39:40], v[39:40], s[22:23], v[74:75]
	;; [unrolled: 1-line block ×4, first 2 shown]
	v_fma_f64 v[64:65], v[68:69], s[16:17], -v[64:65]
	v_fma_f64 v[66:67], v[72:73], s[16:17], -v[66:67]
	;; [unrolled: 1-line block ×4, first 2 shown]
	v_fma_f64 v[68:69], v[2:3], s[26:27], v[22:23]
	v_fma_f64 v[72:73], v[26:27], s[26:27], v[76:77]
	v_fma_f64 v[6:7], v[6:7], s[8:9], -v[22:23]
	v_fma_f64 v[22:23], v[28:29], s[8:9], -v[76:77]
	v_fma_f64 v[2:3], v[2:3], s[24:25], -v[78:79]
	v_fma_f64 v[26:27], v[26:27], s[24:25], -v[80:81]
	v_add_f64 v[28:29], v[30:31], v[34:35]
	v_add_f64 v[30:31], v[41:42], v[39:40]
	v_add_f64 v[41:42], v[64:65], v[34:35]
	v_add_f64 v[64:65], v[66:67], v[39:40]
	v_add_f64 v[34:35], v[43:44], v[34:35]
	v_add_f64 v[39:40], v[45:46], v[39:40]
	v_fma_f64 v[43:44], v[18:19], s[14:15], v[72:73]
	v_fma_f64 v[45:46], v[10:11], s[14:15], v[68:69]
	;; [unrolled: 1-line block ×7, first 2 shown]
	v_fma_f64 v[20:21], v[120:121], v[96:97], -v[70:71]
	v_add_f64 v[22:23], v[43:44], v[28:29]
	v_add_f64 v[49:50], v[30:31], -v[45:46]
	v_add_f64 v[66:67], v[26:27], v[34:35]
	v_add_f64 v[68:69], v[39:40], -v[2:3]
	v_add_f64 v[70:71], v[41:42], -v[18:19]
	v_add_f64 v[72:73], v[6:7], v[64:65]
	v_add_f64 v[18:19], v[18:19], v[41:42]
	v_add_f64 v[41:42], v[64:65], -v[6:7]
	v_add_f64 v[6:7], v[34:35], -v[26:27]
	v_add_f64 v[34:35], v[2:3], v[39:40]
	v_add_f64 v[2:3], v[12:13], v[10:11]
	;; [unrolled: 1-line block ×3, first 2 shown]
	v_add_f64 v[10:11], v[12:13], -v[10:11]
	v_add_f64 v[12:13], v[57:58], -v[20:21]
	v_add_f64 v[20:21], v[14:15], v[8:9]
	v_add_f64 v[39:40], v[51:52], v[55:56]
	v_add_f64 v[8:9], v[14:15], -v[8:9]
	v_add_f64 v[14:15], v[51:52], -v[55:56]
	v_add_f64 v[51:52], v[0:1], v[4:5]
	v_add_f64 v[55:56], v[53:54], v[47:48]
	;; [unrolled: 4-line block ×3, first 2 shown]
	v_add_f64 v[57:58], v[20:21], -v[2:3]
	v_add_f64 v[64:65], v[39:40], -v[26:27]
	;; [unrolled: 1-line block ×6, first 2 shown]
	v_add_f64 v[76:77], v[0:1], v[8:9]
	v_add_f64 v[78:79], v[4:5], v[14:15]
	v_add_f64 v[80:81], v[0:1], -v[8:9]
	v_add_f64 v[82:83], v[4:5], -v[14:15]
	v_add_f64 v[47:48], v[51:52], v[47:48]
	v_add_f64 v[14:15], v[14:15], -v[12:13]
	v_add_f64 v[51:52], v[55:56], v[53:54]
	v_add_f64 v[8:9], v[8:9], -v[10:11]
	v_add_f64 v[0:1], v[10:11], -v[0:1]
	;; [unrolled: 1-line block ×3, first 2 shown]
	v_add_f64 v[10:11], v[76:77], v[10:11]
	v_add_f64 v[12:13], v[78:79], v[12:13]
	;; [unrolled: 1-line block ×3, first 2 shown]
	v_mul_f64 v[2:3], v[2:3], s[0:1]
	v_mul_f64 v[26:27], v[26:27], s[0:1]
	;; [unrolled: 1-line block ×7, first 2 shown]
	v_add_f64 v[53:54], v[88:89], v[51:52]
	v_mul_f64 v[82:83], v[8:9], s[8:9]
	v_fma_f64 v[47:48], v[47:48], s[22:23], v[16:17]
	v_fma_f64 v[20:21], v[20:21], s[6:7], v[2:3]
	;; [unrolled: 1-line block ×3, first 2 shown]
	v_fma_f64 v[55:56], v[57:58], s[16:17], -v[55:56]
	v_fma_f64 v[76:77], v[64:65], s[16:17], -v[76:77]
	;; [unrolled: 1-line block ×4, first 2 shown]
	v_fma_f64 v[64:65], v[4:5], s[26:27], v[80:81]
	v_fma_f64 v[14:15], v[14:15], s[8:9], -v[80:81]
	v_fma_f64 v[4:5], v[4:5], s[24:25], -v[84:85]
	v_fma_f64 v[51:52], v[51:52], s[22:23], v[53:54]
	v_fma_f64 v[57:58], v[0:1], s[26:27], v[78:79]
	v_fma_f64 v[8:9], v[8:9], s[8:9], -v[78:79]
	v_fma_f64 v[0:1], v[0:1], s[24:25], -v[82:83]
	v_add_f64 v[20:21], v[20:21], v[47:48]
	v_add_f64 v[55:56], v[55:56], v[47:48]
	;; [unrolled: 1-line block ×3, first 2 shown]
	v_fma_f64 v[47:48], v[12:13], s[14:15], v[64:65]
	v_fma_f64 v[4:5], v[12:13], s[14:15], v[4:5]
	v_fma_f64 v[12:13], v[12:13], s[14:15], v[14:15]
	v_add_f64 v[76:77], v[76:77], v[51:52]
	v_add_f64 v[26:27], v[26:27], v[51:52]
	v_fma_f64 v[0:1], v[10:11], s[14:15], v[0:1]
	v_fma_f64 v[8:9], v[10:11], s[14:15], v[8:9]
	v_add_f64 v[39:40], v[39:40], v[51:52]
	v_add_f64 v[14:15], v[47:48], v[20:21]
	v_fma_f64 v[51:52], v[10:11], s[14:15], v[57:58]
	v_add_f64 v[10:11], v[28:29], -v[43:44]
	v_add_f64 v[43:44], v[4:5], v[2:3]
	v_add_f64 v[57:58], v[55:56], -v[12:13]
	v_add_f64 v[12:13], v[12:13], v[55:56]
	;; [unrolled: 2-line block ×5, first 2 shown]
	v_add_f64 v[0:1], v[20:21], -v[47:48]
	v_mov_b32_e32 v5, 3
	v_mul_u32_u24_e32 v4, 0x7e0, v59
	v_lshlrev_b32_sdwa v8, v5, v122 dst_sel:DWORD dst_unused:UNUSED_PAD src0_sel:DWORD src1_sel:BYTE_0
	v_add3_u32 v47, 0, v4, v8
	v_mul_u32_u24_e32 v4, 0x7e0, v123
	v_lshlrev_b32_sdwa v5, v5, v124 dst_sel:DWORD dst_unused:UNUSED_PAD src0_sel:DWORD src1_sel:BYTE_0
	v_add3_u32 v48, 0, v4, v5
	ds_write2_b64 v47, v[24:25], v[22:23] offset1:36
	ds_write2_b64 v47, v[66:67], v[70:71] offset0:72 offset1:108
	ds_write2_b64 v47, v[18:19], v[6:7] offset0:144 offset1:180
	ds_write_b64 v47, v[10:11] offset:1728
	ds_write2_b64 v48, v[16:17], v[14:15] offset1:36
	ds_write2_b64 v48, v[43:44], v[57:58] offset0:72 offset1:108
	ds_write2_b64 v48, v[12:13], v[2:3] offset0:144 offset1:180
	ds_write_b64 v48, v[0:1] offset:1728
	s_waitcnt lgkmcnt(0)
	s_barrier
	ds_read_b64 v[16:17], v92
	ds_read_b64 v[22:23], v93
	;; [unrolled: 1-line block ×3, first 2 shown]
	ds_read2_b64 v[0:3], v33 offset0:114 offset1:240
	ds_read2_b64 v[4:7], v36 offset0:110 offset1:236
	;; [unrolled: 1-line block ×4, first 2 shown]
	ds_read_b64 v[24:25], v95
	ds_read_b64 v[20:21], v94
	ds_read_b64 v[26:27], v92 offset:13104
	v_add_f64 v[30:31], v[39:40], -v[51:52]
	v_add_f64 v[39:40], v[51:52], v[39:40]
	s_waitcnt lgkmcnt(0)
	s_barrier
	ds_write2_b64 v47, v[74:75], v[49:50] offset1:36
	ds_write2_b64 v47, v[68:69], v[72:73] offset0:72 offset1:108
	ds_write2_b64 v47, v[41:42], v[34:35] offset0:144 offset1:180
	ds_write_b64 v47, v[28:29] offset:1728
	ds_write2_b64 v48, v[53:54], v[30:31] offset1:36
	ds_write2_b64 v48, v[45:46], v[64:65] offset0:72 offset1:108
	ds_write2_b64 v48, v[55:56], v[76:77] offset0:144 offset1:180
	ds_write_b64 v48, v[39:40] offset:1728
	s_waitcnt lgkmcnt(0)
	s_barrier
	s_and_saveexec_b64 s[28:29], vcc
	s_cbranch_execz .LBB0_31
; %bb.30:
	v_mul_i32_i24_e32 v28, 6, v91
	v_mov_b32_e32 v29, 0
	v_lshlrev_b64 v[28:29], 4, v[28:29]
	v_mov_b32_e32 v30, s13
	v_add_co_u32_e32 v57, vcc, s12, v28
	v_addc_co_u32_e32 v58, vcc, v30, v29, vcc
	global_load_dwordx4 v[28:31], v[57:58], off offset:4080
	v_mul_u32_u24_e32 v33, 6, v90
	v_lshlrev_b32_e32 v59, 4, v33
	global_load_dwordx4 v[33:36], v59, s[12:13] offset:4000
	global_load_dwordx4 v[37:40], v59, s[12:13] offset:4080
	;; [unrolled: 1-line block ×3, first 2 shown]
	global_load_dwordx4 v[45:48], v[57:58], off offset:4064
	global_load_dwordx4 v[49:52], v[57:58], off offset:4000
	global_load_dwordx4 v[53:56], v59, s[12:13] offset:4032
	global_load_dwordx4 v[64:67], v59, s[12:13] offset:4016
	;; [unrolled: 1-line block ×3, first 2 shown]
	global_load_dwordx4 v[72:75], v[57:58], off offset:4048
	global_load_dwordx4 v[76:79], v[57:58], off offset:4032
	global_load_dwordx4 v[80:83], v[57:58], off offset:4016
	v_add_u32_e32 v84, 0xbc0, v92
	v_add_u32_e32 v91, 0x2000, v92
	;; [unrolled: 1-line block ×4, first 2 shown]
	v_mul_lo_u32 v57, s5, v62
	v_mul_lo_u32 v113, s4, v63
	v_mad_u64_u32 v[58:59], s[4:5], s4, v62, 0
	ds_read_b64 v[62:63], v95
	ds_read_b64 v[88:89], v32
	;; [unrolled: 1-line block ×4, first 2 shown]
	ds_read_b64 v[107:108], v92 offset:13104
	ds_read_b64 v[109:110], v92
	ds_read2_b64 v[84:87], v84 offset0:2 offset1:254
	ds_read2_b64 v[91:94], v91 offset0:110 offset1:236
	;; [unrolled: 1-line block ×4, first 2 shown]
	s_mov_b32 s4, 0x20820821
	v_add3_u32 v59, v59, v113, v57
	s_movk_i32 s5, 0xfc
	s_waitcnt vmcnt(10)
	v_mul_f64 v[113:114], v[24:25], v[33:34]
	s_waitcnt vmcnt(9)
	v_mul_f64 v[115:116], v[14:15], v[37:38]
	v_mul_f64 v[14:15], v[14:15], v[39:40]
	s_waitcnt vmcnt(7) lgkmcnt(0)
	v_mul_f64 v[119:120], v[47:48], v[99:100]
	s_waitcnt vmcnt(6)
	v_mul_f64 v[121:122], v[8:9], v[49:50]
	v_mul_f64 v[8:9], v[8:9], v[51:52]
	;; [unrolled: 1-line block ×7, first 2 shown]
	v_fma_f64 v[12:13], v[12:13], v[45:46], v[119:120]
	v_fma_f64 v[51:52], v[84:85], v[51:52], v[121:122]
	v_fma_f64 v[8:9], v[84:85], v[49:50], -v[8:9]
	s_waitcnt vmcnt(2)
	v_mul_f64 v[49:50], v[74:75], v[91:92]
	v_fma_f64 v[26:27], v[26:27], v[28:29], v[111:112]
	v_mul_f64 v[111:112], v[6:7], v[68:69]
	v_mul_f64 v[84:85], v[6:7], v[70:71]
	v_fma_f64 v[6:7], v[45:46], v[99:100], -v[47:48]
	s_waitcnt vmcnt(1)
	v_mul_f64 v[45:46], v[78:79], v[95:96]
	s_waitcnt vmcnt(0)
	v_mul_f64 v[47:48], v[10:11], v[80:81]
	v_mul_f64 v[10:11], v[10:11], v[82:83]
	v_fma_f64 v[28:29], v[28:29], v[107:108], -v[30:31]
	v_mul_f64 v[78:79], v[0:1], v[78:79]
	v_fma_f64 v[49:50], v[4:5], v[72:73], v[49:50]
	v_mul_f64 v[4:5], v[4:5], v[74:75]
	v_mul_f64 v[107:108], v[22:23], v[64:65]
	v_fma_f64 v[0:1], v[0:1], v[76:77], v[45:46]
	v_fma_f64 v[45:46], v[86:87], v[82:83], v[47:48]
	v_fma_f64 v[10:11], v[86:87], v[80:81], -v[10:11]
	v_add_f64 v[80:81], v[8:9], v[28:29]
	v_fma_f64 v[47:48], v[76:77], v[95:96], -v[78:79]
	v_add_f64 v[8:9], v[8:9], -v[28:29]
	v_fma_f64 v[4:5], v[72:73], v[91:92], -v[4:5]
	v_add_f64 v[72:73], v[51:52], -v[26:27]
	v_add_f64 v[76:77], v[49:50], -v[0:1]
	v_add_f64 v[78:79], v[45:46], -v[12:13]
	v_add_f64 v[82:83], v[10:11], v[6:7]
	v_add_f64 v[26:27], v[51:52], v[26:27]
	;; [unrolled: 1-line block ×5, first 2 shown]
	v_add_f64 v[4:5], v[4:5], -v[47:48]
	v_add_f64 v[6:7], v[10:11], -v[6:7]
	;; [unrolled: 1-line block ×4, first 2 shown]
	v_add_f64 v[45:46], v[76:77], v[78:79]
	v_add_f64 v[47:48], v[80:81], v[82:83]
	;; [unrolled: 1-line block ×3, first 2 shown]
	v_add_f64 v[49:50], v[80:81], -v[86:87]
	v_add_f64 v[51:52], v[86:87], -v[82:83]
	;; [unrolled: 1-line block ×7, first 2 shown]
	v_add_f64 v[4:5], v[4:5], v[6:7]
	v_add_f64 v[78:79], v[78:79], -v[72:73]
	v_add_f64 v[47:48], v[86:87], v[47:48]
	v_add_f64 v[0:1], v[0:1], v[76:77]
	v_add_f64 v[12:13], v[12:13], -v[26:27]
	v_add_f64 v[26:27], v[6:7], -v[8:9]
	v_mul_f64 v[28:29], v[28:29], s[20:21]
	v_add_f64 v[45:46], v[72:73], v[45:46]
	v_mul_f64 v[72:73], v[49:50], s[0:1]
	v_mul_f64 v[51:52], v[51:52], s[6:7]
	;; [unrolled: 1-line block ×5, first 2 shown]
	v_add_f64 v[8:9], v[8:9], v[4:5]
	v_add_f64 v[6:7], v[105:106], v[47:48]
	;; [unrolled: 1-line block ×3, first 2 shown]
	v_mul_f64 v[82:83], v[82:83], s[20:21]
	v_fma_f64 v[20:21], v[10:11], s[26:27], v[28:29]
	v_fma_f64 v[49:50], v[49:50], s[0:1], v[51:52]
	;; [unrolled: 1-line block ×3, first 2 shown]
	v_fma_f64 v[10:11], v[10:11], s[24:25], -v[95:96]
	v_fma_f64 v[72:73], v[80:81], s[18:19], -v[72:73]
	;; [unrolled: 1-line block ×5, first 2 shown]
	v_fma_f64 v[47:48], v[47:48], s[22:23], v[6:7]
	v_fma_f64 v[0:1], v[0:1], s[22:23], v[4:5]
	v_fma_f64 v[12:13], v[12:13], s[16:17], -v[86:87]
	v_mul_f64 v[22:23], v[22:23], v[66:67]
	v_fma_f64 v[66:67], v[103:104], v[66:67], v[107:108]
	v_mul_f64 v[107:108], v[26:27], s[8:9]
	v_fma_f64 v[95:96], v[99:100], s[26:27], v[82:83]
	v_fma_f64 v[26:27], v[26:27], s[8:9], -v[82:83]
	v_fma_f64 v[78:79], v[45:46], s[14:15], v[20:21]
	v_fma_f64 v[82:83], v[45:46], s[14:15], v[10:11]
	v_add_f64 v[49:50], v[49:50], v[47:48]
	v_add_f64 v[91:92], v[91:92], v[0:1]
	v_fma_f64 v[20:21], v[45:46], s[14:15], v[28:29]
	v_add_f64 v[28:29], v[72:73], v[47:48]
	v_add_f64 v[45:46], v[76:77], v[0:1]
	;; [unrolled: 1-line block ×4, first 2 shown]
	v_mul_f64 v[0:1], v[18:19], v[55:56]
	v_mul_f64 v[2:3], v[2:3], v[43:44]
	v_mul_f64 v[30:31], v[18:19], v[53:54]
	v_fma_f64 v[37:38], v[101:102], v[37:38], -v[14:15]
	v_fma_f64 v[72:73], v[62:63], v[33:34], -v[24:25]
	;; [unrolled: 1-line block ×4, first 2 shown]
	v_fma_f64 v[70:71], v[93:94], v[70:71], v[111:112]
	v_fma_f64 v[99:100], v[99:100], s[24:25], -v[107:108]
	v_fma_f64 v[26:27], v[8:9], s[14:15], v[26:27]
	v_fma_f64 v[22:23], v[62:63], v[35:36], v[113:114]
	;; [unrolled: 1-line block ×3, first 2 shown]
	v_fma_f64 v[53:54], v[88:89], v[53:54], -v[0:1]
	v_fma_f64 v[41:42], v[97:98], v[41:42], -v[2:3]
	v_fma_f64 v[74:75], v[97:98], v[43:44], v[117:118]
	v_fma_f64 v[30:31], v[88:89], v[55:56], v[30:31]
	v_add_f64 v[43:44], v[72:73], v[37:38]
	v_add_f64 v[55:56], v[64:65], v[32:33]
	v_fma_f64 v[86:87], v[8:9], s[14:15], v[99:100]
	v_add_f64 v[14:15], v[47:48], -v[20:21]
	v_add_f64 v[12:13], v[26:27], v[51:52]
	v_add_f64 v[84:85], v[41:42], v[53:54]
	;; [unrolled: 1-line block ×3, first 2 shown]
	v_add_f64 v[18:19], v[51:52], -v[26:27]
	v_add_f64 v[47:48], v[22:23], v[24:25]
	v_add_f64 v[51:52], v[66:67], v[70:71]
	v_add_f64 v[34:35], v[74:75], -v[30:31]
	v_add_f64 v[39:40], v[66:67], -v[70:71]
	;; [unrolled: 1-line block ×3, first 2 shown]
	v_add_f64 v[76:77], v[43:44], v[55:56]
	v_add_f64 v[0:1], v[45:46], -v[86:87]
	v_add_f64 v[22:23], v[86:87], v[45:46]
	v_add_f64 v[45:46], v[84:85], -v[55:56]
	v_add_f64 v[70:71], v[47:48], v[51:52]
	v_add_f64 v[30:31], v[74:75], v[30:31]
	v_add_f64 v[68:69], v[34:35], -v[39:40]
	v_add_f64 v[66:67], v[62:63], -v[34:35]
	v_add_f64 v[26:27], v[34:35], v[39:40]
	v_add_f64 v[34:35], v[84:85], v[76:77]
	v_add_f64 v[41:42], v[41:42], -v[53:54]
	v_add_f64 v[53:54], v[64:65], -v[32:33]
	;; [unrolled: 1-line block ×3, first 2 shown]
	v_mul_f64 v[45:46], v[45:46], s[6:7]
	v_add_f64 v[70:71], v[30:31], v[70:71]
	v_add_f64 v[36:37], v[72:73], -v[37:38]
	v_add_f64 v[2:3], v[82:83], v[28:29]
	v_add_f64 v[24:25], v[28:29], -v[82:83]
	v_add_f64 v[28:29], v[109:110], v[34:35]
	v_add_f64 v[10:11], v[78:79], v[49:50]
	;; [unrolled: 1-line block ×3, first 2 shown]
	v_add_f64 v[32:33], v[49:50], -v[78:79]
	v_add_f64 v[72:73], v[41:42], -v[53:54]
	v_fma_f64 v[78:79], v[64:65], s[0:1], v[45:46]
	v_add_f64 v[26:27], v[16:17], v[70:71]
	v_mul_f64 v[16:17], v[64:65], s[0:1]
	v_add_f64 v[64:65], v[36:37], -v[41:42]
	v_add_f64 v[38:39], v[39:40], -v[62:63]
	v_add_f64 v[40:41], v[41:42], v[53:54]
	v_add_f64 v[53:54], v[53:54], -v[36:37]
	v_add_f64 v[49:50], v[30:31], -v[51:52]
	v_fma_f64 v[34:35], v[34:35], s[22:23], v[28:29]
	v_add_f64 v[30:31], v[47:48], -v[30:31]
	v_add_f64 v[42:43], v[55:56], -v[43:44]
	v_mul_f64 v[68:69], v[68:69], s[20:21]
	v_add_f64 v[47:48], v[51:52], -v[47:48]
	v_mul_f64 v[86:87], v[38:39], s[8:9]
	v_mul_f64 v[51:52], v[53:54], s[8:9]
	;; [unrolled: 1-line block ×3, first 2 shown]
	v_add_f64 v[62:63], v[78:79], v[34:35]
	v_mul_f64 v[78:79], v[30:31], s[0:1]
	v_fma_f64 v[16:17], v[42:43], s[18:19], -v[16:17]
	v_fma_f64 v[42:43], v[42:43], s[16:17], -v[45:46]
	v_mul_f64 v[72:73], v[72:73], s[20:21]
	v_add_f64 v[40:41], v[36:37], v[40:41]
	v_fma_f64 v[51:52], v[64:65], s[24:25], -v[51:52]
	v_fma_f64 v[38:39], v[38:39], s[8:9], -v[68:69]
	;; [unrolled: 1-line block ×3, first 2 shown]
	v_fma_f64 v[74:75], v[66:67], s[26:27], v[68:69]
	v_fma_f64 v[82:83], v[30:31], s[0:1], v[49:50]
	v_fma_f64 v[66:67], v[47:48], s[18:19], -v[78:79]
	v_fma_f64 v[44:45], v[47:48], s[16:17], -v[49:50]
	v_add_f64 v[16:17], v[16:17], v[34:35]
	v_add_f64 v[48:49], v[42:43], v[34:35]
	v_lshrrev_b32_e32 v34, 2, v90
	v_fma_f64 v[46:47], v[53:54], s[8:9], -v[72:73]
	v_fma_f64 v[50:51], v[40:41], s[14:15], v[51:52]
	v_fma_f64 v[52:53], v[76:77], s[14:15], v[38:39]
	v_mul_hi_u32 v38, v34, s4
	v_fma_f64 v[80:81], v[8:9], s[14:15], v[95:96]
	v_fma_f64 v[70:71], v[70:71], s[22:23], v[26:27]
	;; [unrolled: 1-line block ×3, first 2 shown]
	v_lshrrev_b32_e32 v38, 3, v38
	v_mul_lo_u32 v54, v38, s5
	v_fma_f64 v[55:56], v[76:77], s[14:15], v[55:56]
	v_fma_f64 v[74:75], v[76:77], s[14:15], v[74:75]
	;; [unrolled: 1-line block ×3, first 2 shown]
	v_add_f64 v[8:9], v[91:92], -v[80:81]
	v_add_f64 v[30:31], v[80:81], v[91:92]
	v_add_f64 v[80:81], v[82:83], v[70:71]
	;; [unrolled: 1-line block ×4, first 2 shown]
	v_sub_u32_e32 v70, v90, v54
	v_mad_u64_u32 v[68:69], s[0:1], s2, v70, 0
	v_fma_f64 v[78:79], v[40:41], s[14:15], v[84:85]
	v_add_f64 v[40:41], v[55:56], v[16:17]
	v_add_f64 v[44:45], v[48:49], -v[52:53]
	v_add_f64 v[48:49], v[52:53], v[48:49]
	v_add_f64 v[52:53], v[16:17], -v[55:56]
	v_mov_b32_e32 v16, v69
	v_mad_u64_u32 v[16:17], s[0:1], s3, v70, v[16:17]
	v_add_f64 v[36:37], v[74:75], v[62:63]
	v_add_f64 v[56:57], v[62:63], -v[74:75]
	v_mov_b32_e32 v69, v16
	v_lshlrev_b64 v[16:17], 4, v[58:59]
	v_mov_b32_e32 v58, s11
	v_add_co_u32_e32 v62, vcc, s10, v16
	v_addc_co_u32_e32 v63, vcc, v58, v17, vcc
	v_lshlrev_b64 v[16:17], 4, v[60:61]
	v_add_u32_e32 v60, 0xfc, v70
	v_add_co_u32_e32 v61, vcc, v62, v16
	v_addc_co_u32_e32 v62, vcc, v63, v17, vcc
	v_lshlrev_b64 v[16:17], 4, v[68:69]
	v_mad_u64_u32 v[58:59], s[0:1], s2, v60, 0
	v_add_co_u32_e32 v16, vcc, v61, v16
	v_addc_co_u32_e32 v17, vcc, v62, v17, vcc
	global_store_dwordx4 v[16:17], v[26:29], off
	v_mad_u64_u32 v[59:60], s[0:1], s3, v60, v[59:60]
	v_add_u32_e32 v28, 0x1f8, v70
	v_mad_u64_u32 v[26:27], s[0:1], s2, v28, 0
	v_add_f64 v[54:55], v[78:79], v[80:81]
	v_lshlrev_b64 v[16:17], 4, v[58:59]
	v_mad_u64_u32 v[27:28], s[0:1], s3, v28, v[27:28]
	v_add_u32_e32 v58, 0x2f4, v70
	v_mad_u64_u32 v[28:29], s[0:1], s2, v58, 0
	v_add_f64 v[38:39], v[64:65], -v[50:51]
	v_add_f64 v[50:51], v[50:51], v[64:65]
	v_add_co_u32_e32 v16, vcc, v61, v16
	v_addc_co_u32_e32 v17, vcc, v62, v17, vcc
	global_store_dwordx4 v[16:17], v[54:57], off
	v_lshlrev_b64 v[16:17], 4, v[26:27]
	v_mov_b32_e32 v26, v29
	v_mad_u64_u32 v[26:27], s[0:1], s3, v58, v[26:27]
	v_add_co_u32_e32 v16, vcc, v61, v16
	v_addc_co_u32_e32 v17, vcc, v62, v17, vcc
	v_mov_b32_e32 v29, v26
	global_store_dwordx4 v[16:17], v[50:53], off
	v_lshlrev_b64 v[16:17], 4, v[28:29]
	v_add_u32_e32 v28, 0x3f0, v70
	v_mad_u64_u32 v[26:27], s[0:1], s2, v28, 0
	v_add_f64 v[42:43], v[46:47], v[66:67]
	v_add_f64 v[46:47], v[66:67], -v[46:47]
	v_mad_u64_u32 v[27:28], s[0:1], s3, v28, v[27:28]
	v_add_u32_e32 v50, 0x4ec, v70
	v_mad_u64_u32 v[28:29], s[0:1], s2, v50, 0
	v_add_co_u32_e32 v16, vcc, v61, v16
	v_addc_co_u32_e32 v17, vcc, v62, v17, vcc
	global_store_dwordx4 v[16:17], v[46:49], off
	v_lshlrev_b64 v[16:17], 4, v[26:27]
	v_mov_b32_e32 v26, v29
	v_mad_u64_u32 v[26:27], s[0:1], s3, v50, v[26:27]
	v_add_co_u32_e32 v16, vcc, v61, v16
	v_addc_co_u32_e32 v17, vcc, v62, v17, vcc
	v_mov_b32_e32 v29, v26
	global_store_dwordx4 v[16:17], v[42:45], off
	v_lshlrev_b64 v[16:17], 4, v[28:29]
	v_add_u32_e32 v28, 0x7e, v90
	v_lshrrev_b32_e32 v26, 2, v28
	v_mul_hi_u32 v29, v26, s4
	v_add_u32_e32 v42, 0x5e8, v70
	v_mad_u64_u32 v[26:27], s[0:1], s2, v42, 0
	v_lshrrev_b32_e32 v29, 3, v29
	v_mul_lo_u32 v43, v29, s5
	s_movk_i32 s0, 0x6e4
	v_add_co_u32_e32 v16, vcc, v61, v16
	v_sub_u32_e32 v28, v28, v43
	v_mad_u64_u32 v[28:29], s[0:1], v29, s0, v[28:29]
	v_addc_co_u32_e32 v17, vcc, v62, v17, vcc
	v_mad_u64_u32 v[42:43], s[0:1], s3, v42, v[27:28]
	v_mad_u64_u32 v[43:44], s[0:1], s2, v28, 0
	v_mov_b32_e32 v27, v42
	global_store_dwordx4 v[16:17], v[38:41], off
	v_lshlrev_b64 v[16:17], 4, v[26:27]
	v_mov_b32_e32 v26, v44
	v_add_f64 v[34:35], v[80:81], -v[78:79]
	v_mad_u64_u32 v[26:27], s[0:1], s3, v28, v[26:27]
	v_add_u32_e32 v29, 0xfc, v28
	v_add_co_u32_e32 v16, vcc, v61, v16
	v_mov_b32_e32 v44, v26
	v_mad_u64_u32 v[26:27], s[0:1], s2, v29, 0
	v_addc_co_u32_e32 v17, vcc, v62, v17, vcc
	global_store_dwordx4 v[16:17], v[34:37], off
	v_lshlrev_b64 v[16:17], 4, v[43:44]
	v_mad_u64_u32 v[34:35], s[0:1], s3, v29, v[27:28]
	v_add_u32_e32 v29, 0x1f8, v28
	v_mad_u64_u32 v[35:36], s[0:1], s2, v29, 0
	v_add_co_u32_e32 v16, vcc, v61, v16
	v_addc_co_u32_e32 v17, vcc, v62, v17, vcc
	global_store_dwordx4 v[16:17], v[4:7], off
	v_add_u32_e32 v16, 0x2f4, v28
	v_mov_b32_e32 v6, v36
	v_mad_u64_u32 v[6:7], s[0:1], s3, v29, v[6:7]
	v_mov_b32_e32 v27, v34
	v_lshlrev_b64 v[4:5], 4, v[26:27]
	v_mov_b32_e32 v36, v6
	v_mad_u64_u32 v[6:7], s[0:1], s2, v16, 0
	v_add_co_u32_e32 v4, vcc, v61, v4
	v_mad_u64_u32 v[16:17], s[0:1], s3, v16, v[7:8]
	v_addc_co_u32_e32 v5, vcc, v62, v5, vcc
	v_add_u32_e32 v17, 0x3f0, v28
	global_store_dwordx4 v[4:5], v[30:33], off
	v_lshlrev_b64 v[4:5], 4, v[35:36]
	v_mad_u64_u32 v[26:27], s[0:1], s2, v17, 0
	v_add_co_u32_e32 v4, vcc, v61, v4
	v_addc_co_u32_e32 v5, vcc, v62, v5, vcc
	v_mov_b32_e32 v7, v16
	global_store_dwordx4 v[4:5], v[22:25], off
	v_lshlrev_b64 v[4:5], 4, v[6:7]
	v_mov_b32_e32 v6, v27
	v_mad_u64_u32 v[6:7], s[0:1], s3, v17, v[6:7]
	v_add_u32_e32 v16, 0x4ec, v28
	v_add_co_u32_e32 v4, vcc, v61, v4
	v_mov_b32_e32 v27, v6
	v_mad_u64_u32 v[6:7], s[0:1], s2, v16, 0
	v_addc_co_u32_e32 v5, vcc, v62, v5, vcc
	global_store_dwordx4 v[4:5], v[18:21], off
	v_mad_u64_u32 v[16:17], s[0:1], s3, v16, v[7:8]
	v_add_u32_e32 v19, 0x5e8, v28
	v_lshlrev_b64 v[4:5], 4, v[26:27]
	v_mad_u64_u32 v[17:18], s[0:1], s2, v19, 0
	v_add_co_u32_e32 v4, vcc, v61, v4
	v_addc_co_u32_e32 v5, vcc, v62, v5, vcc
	v_mov_b32_e32 v7, v16
	global_store_dwordx4 v[4:5], v[12:15], off
	v_lshlrev_b64 v[4:5], 4, v[6:7]
	v_mov_b32_e32 v6, v18
	v_mad_u64_u32 v[6:7], s[0:1], s3, v19, v[6:7]
	v_add_co_u32_e32 v4, vcc, v61, v4
	v_addc_co_u32_e32 v5, vcc, v62, v5, vcc
	v_mov_b32_e32 v18, v6
	global_store_dwordx4 v[4:5], v[0:3], off
	s_nop 0
	v_lshlrev_b64 v[0:1], 4, v[17:18]
	v_add_co_u32_e32 v0, vcc, v61, v0
	v_addc_co_u32_e32 v1, vcc, v62, v1, vcc
	global_store_dwordx4 v[0:1], v[8:11], off
.LBB0_31:
	s_endpgm
	.section	.rodata,"a",@progbits
	.p2align	6, 0x0
	.amdhsa_kernel fft_rtc_back_len1764_factors_2_2_3_3_7_7_wgs_126_tpt_126_halfLds_dp_op_CI_CI_sbrr_dirReg
		.amdhsa_group_segment_fixed_size 0
		.amdhsa_private_segment_fixed_size 0
		.amdhsa_kernarg_size 104
		.amdhsa_user_sgpr_count 6
		.amdhsa_user_sgpr_private_segment_buffer 1
		.amdhsa_user_sgpr_dispatch_ptr 0
		.amdhsa_user_sgpr_queue_ptr 0
		.amdhsa_user_sgpr_kernarg_segment_ptr 1
		.amdhsa_user_sgpr_dispatch_id 0
		.amdhsa_user_sgpr_flat_scratch_init 0
		.amdhsa_user_sgpr_private_segment_size 0
		.amdhsa_uses_dynamic_stack 0
		.amdhsa_system_sgpr_private_segment_wavefront_offset 0
		.amdhsa_system_sgpr_workgroup_id_x 1
		.amdhsa_system_sgpr_workgroup_id_y 0
		.amdhsa_system_sgpr_workgroup_id_z 0
		.amdhsa_system_sgpr_workgroup_info 0
		.amdhsa_system_vgpr_workitem_id 0
		.amdhsa_next_free_vgpr 125
		.amdhsa_next_free_sgpr 32
		.amdhsa_reserve_vcc 1
		.amdhsa_reserve_flat_scratch 0
		.amdhsa_float_round_mode_32 0
		.amdhsa_float_round_mode_16_64 0
		.amdhsa_float_denorm_mode_32 3
		.amdhsa_float_denorm_mode_16_64 3
		.amdhsa_dx10_clamp 1
		.amdhsa_ieee_mode 1
		.amdhsa_fp16_overflow 0
		.amdhsa_exception_fp_ieee_invalid_op 0
		.amdhsa_exception_fp_denorm_src 0
		.amdhsa_exception_fp_ieee_div_zero 0
		.amdhsa_exception_fp_ieee_overflow 0
		.amdhsa_exception_fp_ieee_underflow 0
		.amdhsa_exception_fp_ieee_inexact 0
		.amdhsa_exception_int_div_zero 0
	.end_amdhsa_kernel
	.text
.Lfunc_end0:
	.size	fft_rtc_back_len1764_factors_2_2_3_3_7_7_wgs_126_tpt_126_halfLds_dp_op_CI_CI_sbrr_dirReg, .Lfunc_end0-fft_rtc_back_len1764_factors_2_2_3_3_7_7_wgs_126_tpt_126_halfLds_dp_op_CI_CI_sbrr_dirReg
                                        ; -- End function
	.section	.AMDGPU.csdata,"",@progbits
; Kernel info:
; codeLenInByte = 12452
; NumSgprs: 36
; NumVgprs: 125
; ScratchSize: 0
; MemoryBound: 1
; FloatMode: 240
; IeeeMode: 1
; LDSByteSize: 0 bytes/workgroup (compile time only)
; SGPRBlocks: 4
; VGPRBlocks: 31
; NumSGPRsForWavesPerEU: 36
; NumVGPRsForWavesPerEU: 125
; Occupancy: 2
; WaveLimiterHint : 1
; COMPUTE_PGM_RSRC2:SCRATCH_EN: 0
; COMPUTE_PGM_RSRC2:USER_SGPR: 6
; COMPUTE_PGM_RSRC2:TRAP_HANDLER: 0
; COMPUTE_PGM_RSRC2:TGID_X_EN: 1
; COMPUTE_PGM_RSRC2:TGID_Y_EN: 0
; COMPUTE_PGM_RSRC2:TGID_Z_EN: 0
; COMPUTE_PGM_RSRC2:TIDIG_COMP_CNT: 0
	.type	__hip_cuid_ac33a888c0cf5bbd,@object ; @__hip_cuid_ac33a888c0cf5bbd
	.section	.bss,"aw",@nobits
	.globl	__hip_cuid_ac33a888c0cf5bbd
__hip_cuid_ac33a888c0cf5bbd:
	.byte	0                               ; 0x0
	.size	__hip_cuid_ac33a888c0cf5bbd, 1

	.ident	"AMD clang version 19.0.0git (https://github.com/RadeonOpenCompute/llvm-project roc-6.4.0 25133 c7fe45cf4b819c5991fe208aaa96edf142730f1d)"
	.section	".note.GNU-stack","",@progbits
	.addrsig
	.addrsig_sym __hip_cuid_ac33a888c0cf5bbd
	.amdgpu_metadata
---
amdhsa.kernels:
  - .args:
      - .actual_access:  read_only
        .address_space:  global
        .offset:         0
        .size:           8
        .value_kind:     global_buffer
      - .offset:         8
        .size:           8
        .value_kind:     by_value
      - .actual_access:  read_only
        .address_space:  global
        .offset:         16
        .size:           8
        .value_kind:     global_buffer
      - .actual_access:  read_only
        .address_space:  global
        .offset:         24
        .size:           8
        .value_kind:     global_buffer
      - .actual_access:  read_only
        .address_space:  global
        .offset:         32
        .size:           8
        .value_kind:     global_buffer
      - .offset:         40
        .size:           8
        .value_kind:     by_value
      - .actual_access:  read_only
        .address_space:  global
        .offset:         48
        .size:           8
        .value_kind:     global_buffer
      - .actual_access:  read_only
        .address_space:  global
        .offset:         56
        .size:           8
        .value_kind:     global_buffer
      - .offset:         64
        .size:           4
        .value_kind:     by_value
      - .actual_access:  read_only
        .address_space:  global
        .offset:         72
        .size:           8
        .value_kind:     global_buffer
      - .actual_access:  read_only
        .address_space:  global
        .offset:         80
        .size:           8
        .value_kind:     global_buffer
      - .actual_access:  read_only
        .address_space:  global
        .offset:         88
        .size:           8
        .value_kind:     global_buffer
      - .actual_access:  write_only
        .address_space:  global
        .offset:         96
        .size:           8
        .value_kind:     global_buffer
    .group_segment_fixed_size: 0
    .kernarg_segment_align: 8
    .kernarg_segment_size: 104
    .language:       OpenCL C
    .language_version:
      - 2
      - 0
    .max_flat_workgroup_size: 126
    .name:           fft_rtc_back_len1764_factors_2_2_3_3_7_7_wgs_126_tpt_126_halfLds_dp_op_CI_CI_sbrr_dirReg
    .private_segment_fixed_size: 0
    .sgpr_count:     36
    .sgpr_spill_count: 0
    .symbol:         fft_rtc_back_len1764_factors_2_2_3_3_7_7_wgs_126_tpt_126_halfLds_dp_op_CI_CI_sbrr_dirReg.kd
    .uniform_work_group_size: 1
    .uses_dynamic_stack: false
    .vgpr_count:     125
    .vgpr_spill_count: 0
    .wavefront_size: 64
amdhsa.target:   amdgcn-amd-amdhsa--gfx906
amdhsa.version:
  - 1
  - 2
...

	.end_amdgpu_metadata
